;; amdgpu-corpus repo=ROCm/rocFFT kind=compiled arch=gfx1201 opt=O3
	.text
	.amdgcn_target "amdgcn-amd-amdhsa--gfx1201"
	.amdhsa_code_object_version 6
	.protected	fft_rtc_back_len432_factors_3_16_3_3_wgs_54_tpt_27_halfLds_half_ip_CI_unitstride_sbrr_R2C_dirReg ; -- Begin function fft_rtc_back_len432_factors_3_16_3_3_wgs_54_tpt_27_halfLds_half_ip_CI_unitstride_sbrr_R2C_dirReg
	.globl	fft_rtc_back_len432_factors_3_16_3_3_wgs_54_tpt_27_halfLds_half_ip_CI_unitstride_sbrr_R2C_dirReg
	.p2align	8
	.type	fft_rtc_back_len432_factors_3_16_3_3_wgs_54_tpt_27_halfLds_half_ip_CI_unitstride_sbrr_R2C_dirReg,@function
fft_rtc_back_len432_factors_3_16_3_3_wgs_54_tpt_27_halfLds_half_ip_CI_unitstride_sbrr_R2C_dirReg: ; @fft_rtc_back_len432_factors_3_16_3_3_wgs_54_tpt_27_halfLds_half_ip_CI_unitstride_sbrr_R2C_dirReg
; %bb.0:
	s_clause 0x2
	s_load_b128 s[4:7], s[0:1], 0x0
	s_load_b64 s[8:9], s[0:1], 0x50
	s_load_b64 s[10:11], s[0:1], 0x18
	v_mul_u32_u24_e32 v1, 0x97c, v0
	v_mov_b32_e32 v3, 0
	s_delay_alu instid0(VALU_DEP_2) | instskip(SKIP_2) | instid1(VALU_DEP_4)
	v_lshrrev_b32_e32 v7, 16, v1
	v_mov_b32_e32 v1, 0
	v_mov_b32_e32 v2, 0
	;; [unrolled: 1-line block ×3, first 2 shown]
	s_delay_alu instid0(VALU_DEP_4) | instskip(SKIP_2) | instid1(VALU_DEP_1)
	v_lshl_add_u32 v5, ttmp9, 1, v7
	s_wait_kmcnt 0x0
	v_cmp_lt_u64_e64 s2, s[6:7], 2
	s_and_b32 vcc_lo, exec_lo, s2
	s_cbranch_vccnz .LBB0_8
; %bb.1:
	s_load_b64 s[2:3], s[0:1], 0x10
	v_mov_b32_e32 v1, 0
	v_mov_b32_e32 v2, 0
	s_add_nc_u64 s[12:13], s[10:11], 8
	s_mov_b64 s[14:15], 1
	s_wait_kmcnt 0x0
	s_add_nc_u64 s[16:17], s[2:3], 8
	s_mov_b32 s3, 0
.LBB0_2:                                ; =>This Inner Loop Header: Depth=1
	s_load_b64 s[18:19], s[16:17], 0x0
                                        ; implicit-def: $vgpr13_vgpr14
	s_mov_b32 s2, exec_lo
	s_wait_kmcnt 0x0
	v_or_b32_e32 v4, s19, v6
	s_delay_alu instid0(VALU_DEP_1)
	v_cmpx_ne_u64_e32 0, v[3:4]
	s_wait_alu 0xfffe
	s_xor_b32 s20, exec_lo, s2
	s_cbranch_execz .LBB0_4
; %bb.3:                                ;   in Loop: Header=BB0_2 Depth=1
	s_cvt_f32_u32 s2, s18
	s_cvt_f32_u32 s21, s19
	s_sub_nc_u64 s[24:25], 0, s[18:19]
	s_wait_alu 0xfffe
	s_delay_alu instid0(SALU_CYCLE_1) | instskip(SKIP_1) | instid1(SALU_CYCLE_2)
	s_fmamk_f32 s2, s21, 0x4f800000, s2
	s_wait_alu 0xfffe
	v_s_rcp_f32 s2, s2
	s_delay_alu instid0(TRANS32_DEP_1) | instskip(SKIP_1) | instid1(SALU_CYCLE_2)
	s_mul_f32 s2, s2, 0x5f7ffffc
	s_wait_alu 0xfffe
	s_mul_f32 s21, s2, 0x2f800000
	s_wait_alu 0xfffe
	s_delay_alu instid0(SALU_CYCLE_2) | instskip(SKIP_1) | instid1(SALU_CYCLE_2)
	s_trunc_f32 s21, s21
	s_wait_alu 0xfffe
	s_fmamk_f32 s2, s21, 0xcf800000, s2
	s_cvt_u32_f32 s23, s21
	s_wait_alu 0xfffe
	s_delay_alu instid0(SALU_CYCLE_1) | instskip(SKIP_1) | instid1(SALU_CYCLE_2)
	s_cvt_u32_f32 s22, s2
	s_wait_alu 0xfffe
	s_mul_u64 s[26:27], s[24:25], s[22:23]
	s_wait_alu 0xfffe
	s_mul_hi_u32 s29, s22, s27
	s_mul_i32 s28, s22, s27
	s_mul_hi_u32 s2, s22, s26
	s_mul_i32 s30, s23, s26
	s_wait_alu 0xfffe
	s_add_nc_u64 s[28:29], s[2:3], s[28:29]
	s_mul_hi_u32 s21, s23, s26
	s_mul_hi_u32 s31, s23, s27
	s_add_co_u32 s2, s28, s30
	s_wait_alu 0xfffe
	s_add_co_ci_u32 s2, s29, s21
	s_mul_i32 s26, s23, s27
	s_add_co_ci_u32 s27, s31, 0
	s_wait_alu 0xfffe
	s_add_nc_u64 s[26:27], s[2:3], s[26:27]
	s_wait_alu 0xfffe
	v_add_co_u32 v4, s2, s22, s26
	s_delay_alu instid0(VALU_DEP_1) | instskip(SKIP_1) | instid1(VALU_DEP_1)
	s_cmp_lg_u32 s2, 0
	s_add_co_ci_u32 s23, s23, s27
	v_readfirstlane_b32 s22, v4
	s_wait_alu 0xfffe
	s_delay_alu instid0(VALU_DEP_1)
	s_mul_u64 s[24:25], s[24:25], s[22:23]
	s_wait_alu 0xfffe
	s_mul_hi_u32 s27, s22, s25
	s_mul_i32 s26, s22, s25
	s_mul_hi_u32 s2, s22, s24
	s_mul_i32 s28, s23, s24
	s_wait_alu 0xfffe
	s_add_nc_u64 s[26:27], s[2:3], s[26:27]
	s_mul_hi_u32 s21, s23, s24
	s_mul_hi_u32 s22, s23, s25
	s_wait_alu 0xfffe
	s_add_co_u32 s2, s26, s28
	s_add_co_ci_u32 s2, s27, s21
	s_mul_i32 s24, s23, s25
	s_add_co_ci_u32 s25, s22, 0
	s_wait_alu 0xfffe
	s_add_nc_u64 s[24:25], s[2:3], s[24:25]
	s_wait_alu 0xfffe
	v_add_co_u32 v4, s2, v4, s24
	s_delay_alu instid0(VALU_DEP_1) | instskip(SKIP_1) | instid1(VALU_DEP_1)
	s_cmp_lg_u32 s2, 0
	s_add_co_ci_u32 s2, s23, s25
	v_mul_hi_u32 v14, v5, v4
	s_wait_alu 0xfffe
	v_mad_co_u64_u32 v[8:9], null, v5, s2, 0
	v_mad_co_u64_u32 v[10:11], null, v6, v4, 0
	;; [unrolled: 1-line block ×3, first 2 shown]
	s_delay_alu instid0(VALU_DEP_3) | instskip(SKIP_1) | instid1(VALU_DEP_4)
	v_add_co_u32 v4, vcc_lo, v14, v8
	s_wait_alu 0xfffd
	v_add_co_ci_u32_e32 v8, vcc_lo, 0, v9, vcc_lo
	s_delay_alu instid0(VALU_DEP_2) | instskip(SKIP_1) | instid1(VALU_DEP_2)
	v_add_co_u32 v4, vcc_lo, v4, v10
	s_wait_alu 0xfffd
	v_add_co_ci_u32_e32 v4, vcc_lo, v8, v11, vcc_lo
	s_wait_alu 0xfffd
	v_add_co_ci_u32_e32 v8, vcc_lo, 0, v13, vcc_lo
	s_delay_alu instid0(VALU_DEP_2) | instskip(SKIP_1) | instid1(VALU_DEP_2)
	v_add_co_u32 v4, vcc_lo, v4, v12
	s_wait_alu 0xfffd
	v_add_co_ci_u32_e32 v10, vcc_lo, 0, v8, vcc_lo
	s_delay_alu instid0(VALU_DEP_2) | instskip(SKIP_1) | instid1(VALU_DEP_3)
	v_mul_lo_u32 v11, s19, v4
	v_mad_co_u64_u32 v[8:9], null, s18, v4, 0
	v_mul_lo_u32 v12, s18, v10
	s_delay_alu instid0(VALU_DEP_2) | instskip(NEXT) | instid1(VALU_DEP_2)
	v_sub_co_u32 v8, vcc_lo, v5, v8
	v_add3_u32 v9, v9, v12, v11
	s_delay_alu instid0(VALU_DEP_1) | instskip(SKIP_1) | instid1(VALU_DEP_1)
	v_sub_nc_u32_e32 v11, v6, v9
	s_wait_alu 0xfffd
	v_subrev_co_ci_u32_e64 v11, s2, s19, v11, vcc_lo
	v_add_co_u32 v12, s2, v4, 2
	s_wait_alu 0xf1ff
	v_add_co_ci_u32_e64 v13, s2, 0, v10, s2
	v_sub_co_u32 v14, s2, v8, s18
	v_sub_co_ci_u32_e32 v9, vcc_lo, v6, v9, vcc_lo
	s_wait_alu 0xf1ff
	v_subrev_co_ci_u32_e64 v11, s2, 0, v11, s2
	s_delay_alu instid0(VALU_DEP_3) | instskip(NEXT) | instid1(VALU_DEP_3)
	v_cmp_le_u32_e32 vcc_lo, s18, v14
	v_cmp_eq_u32_e64 s2, s19, v9
	s_wait_alu 0xfffd
	v_cndmask_b32_e64 v14, 0, -1, vcc_lo
	v_cmp_le_u32_e32 vcc_lo, s19, v11
	s_wait_alu 0xfffd
	v_cndmask_b32_e64 v15, 0, -1, vcc_lo
	v_cmp_le_u32_e32 vcc_lo, s18, v8
	;; [unrolled: 3-line block ×3, first 2 shown]
	s_wait_alu 0xfffd
	v_cndmask_b32_e64 v16, 0, -1, vcc_lo
	v_cmp_eq_u32_e32 vcc_lo, s19, v11
	s_wait_alu 0xf1ff
	s_delay_alu instid0(VALU_DEP_2)
	v_cndmask_b32_e64 v8, v16, v8, s2
	s_wait_alu 0xfffd
	v_cndmask_b32_e32 v11, v15, v14, vcc_lo
	v_add_co_u32 v14, vcc_lo, v4, 1
	s_wait_alu 0xfffd
	v_add_co_ci_u32_e32 v15, vcc_lo, 0, v10, vcc_lo
	s_delay_alu instid0(VALU_DEP_3) | instskip(SKIP_1) | instid1(VALU_DEP_2)
	v_cmp_ne_u32_e32 vcc_lo, 0, v11
	s_wait_alu 0xfffd
	v_cndmask_b32_e32 v9, v15, v13, vcc_lo
	v_cndmask_b32_e32 v11, v14, v12, vcc_lo
	v_cmp_ne_u32_e32 vcc_lo, 0, v8
	s_wait_alu 0xfffd
	s_delay_alu instid0(VALU_DEP_2)
	v_dual_cndmask_b32 v14, v10, v9 :: v_dual_cndmask_b32 v13, v4, v11
.LBB0_4:                                ;   in Loop: Header=BB0_2 Depth=1
	s_wait_alu 0xfffe
	s_and_not1_saveexec_b32 s2, s20
	s_cbranch_execz .LBB0_6
; %bb.5:                                ;   in Loop: Header=BB0_2 Depth=1
	v_cvt_f32_u32_e32 v4, s18
	s_sub_co_i32 s20, 0, s18
	v_mov_b32_e32 v14, v3
	s_delay_alu instid0(VALU_DEP_2) | instskip(NEXT) | instid1(TRANS32_DEP_1)
	v_rcp_iflag_f32_e32 v4, v4
	v_mul_f32_e32 v4, 0x4f7ffffe, v4
	s_delay_alu instid0(VALU_DEP_1) | instskip(SKIP_1) | instid1(VALU_DEP_1)
	v_cvt_u32_f32_e32 v4, v4
	s_wait_alu 0xfffe
	v_mul_lo_u32 v8, s20, v4
	s_delay_alu instid0(VALU_DEP_1) | instskip(NEXT) | instid1(VALU_DEP_1)
	v_mul_hi_u32 v8, v4, v8
	v_add_nc_u32_e32 v4, v4, v8
	s_delay_alu instid0(VALU_DEP_1) | instskip(NEXT) | instid1(VALU_DEP_1)
	v_mul_hi_u32 v4, v5, v4
	v_mul_lo_u32 v8, v4, s18
	s_delay_alu instid0(VALU_DEP_1) | instskip(NEXT) | instid1(VALU_DEP_1)
	v_sub_nc_u32_e32 v8, v5, v8
	v_subrev_nc_u32_e32 v10, s18, v8
	v_cmp_le_u32_e32 vcc_lo, s18, v8
	s_wait_alu 0xfffd
	s_delay_alu instid0(VALU_DEP_2) | instskip(NEXT) | instid1(VALU_DEP_1)
	v_dual_cndmask_b32 v8, v8, v10 :: v_dual_add_nc_u32 v9, 1, v4
	v_cndmask_b32_e32 v4, v4, v9, vcc_lo
	s_delay_alu instid0(VALU_DEP_2) | instskip(NEXT) | instid1(VALU_DEP_2)
	v_cmp_le_u32_e32 vcc_lo, s18, v8
	v_add_nc_u32_e32 v9, 1, v4
	s_wait_alu 0xfffd
	s_delay_alu instid0(VALU_DEP_1)
	v_cndmask_b32_e32 v13, v4, v9, vcc_lo
.LBB0_6:                                ;   in Loop: Header=BB0_2 Depth=1
	s_wait_alu 0xfffe
	s_or_b32 exec_lo, exec_lo, s2
	s_load_b64 s[20:21], s[12:13], 0x0
	v_mul_lo_u32 v4, v14, s18
	v_mul_lo_u32 v10, v13, s19
	v_mad_co_u64_u32 v[8:9], null, v13, s18, 0
	s_add_nc_u64 s[14:15], s[14:15], 1
	s_add_nc_u64 s[12:13], s[12:13], 8
	s_wait_alu 0xfffe
	v_cmp_ge_u64_e64 s2, s[14:15], s[6:7]
	s_add_nc_u64 s[16:17], s[16:17], 8
	s_delay_alu instid0(VALU_DEP_2) | instskip(NEXT) | instid1(VALU_DEP_3)
	v_add3_u32 v4, v9, v10, v4
	v_sub_co_u32 v5, vcc_lo, v5, v8
	s_wait_alu 0xfffd
	s_delay_alu instid0(VALU_DEP_2) | instskip(SKIP_3) | instid1(VALU_DEP_2)
	v_sub_co_ci_u32_e32 v4, vcc_lo, v6, v4, vcc_lo
	s_and_b32 vcc_lo, exec_lo, s2
	s_wait_kmcnt 0x0
	v_mul_lo_u32 v6, s21, v5
	v_mul_lo_u32 v4, s20, v4
	v_mad_co_u64_u32 v[1:2], null, s20, v5, v[1:2]
	s_delay_alu instid0(VALU_DEP_1)
	v_add3_u32 v2, v6, v2, v4
	s_wait_alu 0xfffe
	s_cbranch_vccnz .LBB0_9
; %bb.7:                                ;   in Loop: Header=BB0_2 Depth=1
	v_dual_mov_b32 v5, v13 :: v_dual_mov_b32 v6, v14
	s_branch .LBB0_2
.LBB0_8:
	v_dual_mov_b32 v14, v6 :: v_dual_mov_b32 v13, v5
.LBB0_9:
	s_lshl_b64 s[2:3], s[6:7], 3
	v_mul_hi_u32 v3, 0x97b425f, v0
	s_wait_alu 0xfffe
	s_add_nc_u64 s[2:3], s[10:11], s[2:3]
	s_load_b64 s[6:7], s[0:1], 0x20
	s_load_b64 s[2:3], s[2:3], 0x0
	v_and_b32_e32 v4, 1, v7
	s_delay_alu instid0(VALU_DEP_2) | instskip(NEXT) | instid1(VALU_DEP_2)
	v_mul_u32_u24_e32 v3, 27, v3
	v_cmp_eq_u32_e64 s0, 1, v4
	s_delay_alu instid0(VALU_DEP_2) | instskip(NEXT) | instid1(VALU_DEP_1)
	v_sub_nc_u32_e32 v0, v0, v3
	v_add_nc_u32_e32 v12, 27, v0
	v_add_nc_u32_e32 v10, 54, v0
	;; [unrolled: 1-line block ×4, first 2 shown]
	s_wait_kmcnt 0x0
	v_cmp_gt_u64_e32 vcc_lo, s[6:7], v[13:14]
	v_mul_lo_u32 v3, s2, v14
	v_mul_lo_u32 v5, s3, v13
	v_mad_co_u64_u32 v[1:2], null, s2, v13, v[1:2]
	v_cmp_le_u64_e64 s1, s[6:7], v[13:14]
	v_add_nc_u32_e32 v4, 0x87, v0
	s_delay_alu instid0(VALU_DEP_3) | instskip(NEXT) | instid1(VALU_DEP_3)
	v_add3_u32 v2, v5, v2, v3
	s_and_saveexec_b32 s2, s1
	s_wait_alu 0xfffe
	s_xor_b32 s1, exec_lo, s2
; %bb.10:
	v_add_nc_u32_e32 v12, 27, v0
	v_add_nc_u32_e32 v10, 54, v0
	;; [unrolled: 1-line block ×5, first 2 shown]
; %bb.11:
	s_wait_alu 0xfffe
	s_or_saveexec_b32 s1, s1
	v_cndmask_b32_e64 v5, 0, 0x1b1, s0
	v_lshlrev_b64_e32 v[2:3], 2, v[1:2]
	s_delay_alu instid0(VALU_DEP_2)
	v_lshlrev_b32_e32 v31, 2, v5
	v_lshlrev_b32_e32 v5, 2, v0
	s_wait_alu 0xfffe
	s_xor_b32 exec_lo, exec_lo, s1
	s_cbranch_execz .LBB0_13
; %bb.12:
	v_mov_b32_e32 v1, 0
	s_delay_alu instid0(VALU_DEP_1) | instskip(SKIP_3) | instid1(VALU_DEP_2)
	v_lshlrev_b64_e32 v[13:14], 2, v[0:1]
	v_add_co_u32 v1, s0, s8, v2
	s_wait_alu 0xf1ff
	v_add_co_ci_u32_e64 v7, s0, s9, v3, s0
	v_add_co_u32 v13, s0, v1, v13
	s_wait_alu 0xf1ff
	s_delay_alu instid0(VALU_DEP_2)
	v_add_co_ci_u32_e64 v14, s0, v7, v14, s0
	s_clause 0xf
	global_load_b32 v1, v[13:14], off
	global_load_b32 v7, v[13:14], off offset:108
	global_load_b32 v9, v[13:14], off offset:216
	;; [unrolled: 1-line block ×15, first 2 shown]
	v_add3_u32 v14, 0, v31, v5
	s_delay_alu instid0(VALU_DEP_1)
	v_add_nc_u32_e32 v26, 0x400, v14
	s_wait_loadcnt 0xe
	ds_store_2addr_b32 v14, v1, v7 offset1:27
	s_wait_loadcnt 0xc
	ds_store_2addr_b32 v14, v9, v11 offset0:54 offset1:81
	s_wait_loadcnt 0xa
	ds_store_2addr_b32 v14, v15, v16 offset0:108 offset1:135
	;; [unrolled: 2-line block ×7, first 2 shown]
.LBB0_13:
	s_or_b32 exec_lo, exec_lo, s1
	v_add_nc_u32_e32 v1, 0, v5
	v_add_nc_u32_e32 v29, 0, v31
	global_wb scope:SCOPE_SE
	s_wait_dscnt 0x0
	s_barrier_signal -1
	s_barrier_wait -1
	v_add_nc_u32_e32 v1, v1, v31
	global_inv scope:SCOPE_SE
	v_add_nc_u32_e32 v28, v29, v5
	v_mad_i32_i24 v7, v12, 12, 0
	v_mad_i32_i24 v9, v10, 12, 0
	ds_load_2addr_b32 v[14:15], v1 offset0:135 offset1:144
	v_add_nc_u32_e32 v20, 0x400, v1
	ds_load_2addr_b32 v[21:22], v1 offset0:81 offset1:108
	ds_load_2addr_b32 v[23:24], v1 offset0:225 offset1:252
	;; [unrolled: 1-line block ×4, first 2 shown]
	ds_load_b32 v19, v1 offset:1692
	ds_load_b32 v13, v28
	ds_load_2addr_b32 v[16:17], v20 offset0:23 offset1:32
	ds_load_2addr_b32 v[35:36], v20 offset0:113 offset1:140
	v_lshl_add_u32 v41, v0, 3, v1
	v_add_nc_u32_e32 v27, v7, v31
	v_mad_i32_i24 v11, v8, 12, 0
	ds_load_2addr_b32 v[37:38], v20 offset0:59 offset1:86
	global_wb scope:SCOPE_SE
	s_wait_dscnt 0x0
	s_barrier_signal -1
	s_barrier_wait -1
	global_inv scope:SCOPE_SE
	v_add_nc_u32_e32 v30, v9, v31
	v_mad_i32_i24 v18, v6, 12, 0
	v_add_nc_u32_e32 v39, v11, v31
	v_cmp_gt_u32_e64 s0, 9, v0
	v_pk_add_f16 v32, v22, v24
	v_pk_add_f16 v42, v21, v23
	;; [unrolled: 1-line block ×6, first 2 shown]
	v_pk_add_f16 v15, v15, v17 neg_lo:[0,1] neg_hi:[0,1]
	v_pk_add_f16 v46, v16, v19
	v_pk_add_f16 v47, v16, v19 neg_lo:[0,1] neg_hi:[0,1]
	v_pk_add_f16 v45, v45, v17
	v_pk_add_f16 v44, v44, v37
	;; [unrolled: 1-line block ×3, first 2 shown]
	v_pk_add_f16 v37, v33, v37 neg_lo:[0,1] neg_hi:[0,1]
	v_pk_fma_f16 v49, v49, 0.5, v13 op_sel_hi:[1,0,1] neg_lo:[1,0,0] neg_hi:[1,0,0]
	v_pk_mul_f16 v15, 0x3aee, v15 op_sel_hi:[0,1]
	v_pk_fma_f16 v46, v46, 0.5, v14 op_sel_hi:[1,0,1] neg_lo:[1,0,0] neg_hi:[1,0,0]
	v_pk_fma_f16 v17, v17, 0.5, v25 op_sel_hi:[1,0,1] neg_lo:[1,0,0] neg_hi:[1,0,0]
	v_pk_mul_f16 v25, 0x3aee, v37 op_sel_hi:[0,1]
	v_pk_add_f16 v48, v32, v36
	v_pk_add_f16 v37, v49, v15 op_sel:[0,1] op_sel_hi:[1,0] neg_lo:[0,1] neg_hi:[0,1]
	v_pk_add_f16 v15, v49, v15 op_sel:[0,1] op_sel_hi:[1,0]
	v_pk_fma_f16 v32, 0x3aee, v47, v46 op_sel:[0,0,1] op_sel_hi:[0,1,0] neg_lo:[0,1,0] neg_hi:[0,1,0]
	v_pk_fma_f16 v33, 0x3aee, v47, v46 op_sel:[0,0,1] op_sel_hi:[0,1,0]
	v_pk_add_f16 v46, v17, v25 op_sel:[0,1] op_sel_hi:[1,0] neg_lo:[0,1] neg_hi:[0,1]
	v_pk_add_f16 v17, v17, v25 op_sel:[0,1] op_sel_hi:[1,0]
	v_bfi_b32 v25, 0xffff, v37, v15
	v_pk_add_f16 v47, v34, v38
	v_pk_add_f16 v34, v34, v38 neg_lo:[0,1] neg_hi:[0,1]
	v_bfi_b32 v15, 0xffff, v15, v37
	v_bfi_b32 v37, 0xffff, v46, v17
	;; [unrolled: 1-line block ×3, first 2 shown]
	v_pk_fma_f16 v26, v47, 0.5, v26 op_sel_hi:[1,0,1] neg_lo:[1,0,0] neg_hi:[1,0,0]
	v_pk_mul_f16 v34, 0x3aee, v34 op_sel_hi:[0,1]
	ds_store_2addr_b32 v41, v45, v25 offset1:1
	ds_store_b32 v41, v15 offset:8
	ds_store_2addr_b32 v27, v44, v37 offset1:1
	ds_store_b32 v27, v17 offset:8
	v_pk_add_f16 v17, v23, v35
	v_pk_add_f16 v23, v23, v35 neg_lo:[0,1] neg_hi:[0,1]
	v_pk_add_f16 v25, v24, v36
	v_pk_add_f16 v24, v24, v36 neg_lo:[0,1] neg_hi:[0,1]
	v_pk_add_f16 v15, v26, v34 op_sel:[0,1] op_sel_hi:[1,0] neg_lo:[0,1] neg_hi:[0,1]
	v_pk_add_f16 v26, v26, v34 op_sel:[0,1] op_sel_hi:[1,0]
	v_pk_fma_f16 v17, v17, 0.5, v21 op_sel_hi:[1,0,1] neg_lo:[1,0,0] neg_hi:[1,0,0]
	v_pk_mul_f16 v21, 0x3aee, v23 op_sel_hi:[0,1]
	v_pk_fma_f16 v22, v25, 0.5, v22 op_sel_hi:[1,0,1] neg_lo:[1,0,0] neg_hi:[1,0,0]
	v_pk_mul_f16 v23, 0x3aee, v24 op_sel_hi:[0,1]
	v_pk_add_f16 v43, v43, v38
	v_bfi_b32 v24, 0xffff, v15, v26
	v_pk_add_f16 v25, v17, v21 op_sel:[0,1] op_sel_hi:[1,0] neg_lo:[0,1] neg_hi:[0,1]
	v_pk_add_f16 v17, v17, v21 op_sel:[0,1] op_sel_hi:[1,0]
	v_bfi_b32 v15, 0xffff, v26, v15
	v_pk_add_f16 v21, v22, v23 op_sel:[0,1] op_sel_hi:[1,0] neg_lo:[0,1] neg_hi:[0,1]
	v_pk_add_f16 v22, v22, v23 op_sel:[0,1] op_sel_hi:[1,0]
	v_pk_add_f16 v42, v42, v35
	v_lshrrev_b32_e32 v13, 16, v32
	ds_store_2addr_b32 v30, v43, v24 offset1:1
	ds_store_b32 v30, v15 offset:8
	v_bfi_b32 v15, 0xffff, v25, v17
	v_bfi_b32 v17, 0xffff, v17, v25
	v_add_nc_u32_e32 v40, v18, v31
	v_bfi_b32 v23, 0xffff, v21, v22
	v_bfi_b32 v21, 0xffff, v22, v21
	ds_store_2addr_b32 v39, v42, v15 offset1:1
	ds_store_b32 v39, v17 offset:8
	ds_store_2addr_b32 v40, v48, v23 offset1:1
	ds_store_b32 v40, v21 offset:8
	s_and_saveexec_b32 s1, s0
	s_cbranch_execz .LBB0_15
; %bb.14:
	v_mul_i32_i24_e32 v15, 12, v4
	v_pk_add_f16 v14, v14, v16
	v_perm_b32 v16, v33, v13, 0x5040100
	v_alignbit_b32 v17, v32, v33, 16
	s_delay_alu instid0(VALU_DEP_4) | instskip(NEXT) | instid1(VALU_DEP_4)
	v_add3_u32 v15, 0, v15, v31
	v_pk_add_f16 v14, v14, v19
	ds_store_b32 v15, v14
	ds_store_2addr_b32 v15, v16, v17 offset0:1 offset1:2
.LBB0_15:
	s_wait_alu 0xfffe
	s_or_b32 exec_lo, exec_lo, s1
	v_and_b32_e32 v14, 0xff, v0
	global_wb scope:SCOPE_SE
	s_wait_dscnt 0x0
	s_barrier_signal -1
	s_barrier_wait -1
	global_inv scope:SCOPE_SE
	v_mul_lo_u16 v14, 0xab, v14
	v_lshlrev_b32_e32 v30, 3, v12
	v_lshlrev_b32_e32 v34, 3, v10
	;; [unrolled: 1-line block ×4, first 2 shown]
	v_lshrrev_b16 v47, 9, v14
	v_sub_nc_u32_e32 v30, v7, v30
	v_sub_nc_u32_e32 v9, v9, v34
	;; [unrolled: 1-line block ×3, first 2 shown]
	v_add3_u32 v34, 0, v51, v31
	v_mul_lo_u16 v14, v47, 3
	v_add_nc_u32_e32 v30, v30, v31
	v_add_nc_u32_e32 v11, v9, v31
	;; [unrolled: 1-line block ×3, first 2 shown]
	v_and_b32_e32 v47, 0xffff, v47
	v_sub_nc_u16 v14, v0, v14
	v_add_nc_u32_e32 v55, 0x200, v1
	s_delay_alu instid0(VALU_DEP_3) | instskip(NEXT) | instid1(VALU_DEP_3)
	v_mul_u32_u24_e32 v47, 48, v47
	v_and_b32_e32 v48, 0xff, v14
	s_delay_alu instid0(VALU_DEP_1) | instskip(NEXT) | instid1(VALU_DEP_3)
	v_mul_u32_u24_e32 v14, 15, v48
	v_or_b32_e32 v47, v47, v48
	s_delay_alu instid0(VALU_DEP_2) | instskip(NEXT) | instid1(VALU_DEP_2)
	v_lshlrev_b32_e32 v19, 2, v14
	v_lshlrev_b32_e32 v47, 2, v47
	s_clause 0x3
	global_load_b128 v[14:17], v19, s[4:5]
	global_load_b128 v[21:24], v19, s[4:5] offset:16
	global_load_b128 v[35:38], v19, s[4:5] offset:32
	global_load_b96 v[25:27], v19, s[4:5] offset:48
	v_lshlrev_b32_e32 v19, 3, v6
	ds_load_b32 v49, v28
	ds_load_2addr_b32 v[39:40], v1 offset0:162 offset1:189
	ds_load_2addr_b32 v[41:42], v1 offset0:216 offset1:243
	;; [unrolled: 1-line block ×4, first 2 shown]
	v_add3_u32 v47, 0, v47, v31
	v_sub_nc_u32_e32 v52, v18, v19
	ds_load_2addr_b32 v[18:19], v20 offset0:122 offset1:149
	v_add_nc_u32_e32 v7, v52, v31
	ds_load_b32 v50, v7
	ds_load_b32 v51, v34
	;; [unrolled: 1-line block ×5, first 2 shown]
	global_wb scope:SCOPE_SE
	s_wait_loadcnt_dscnt 0x0
	s_barrier_signal -1
	s_barrier_wait -1
	v_lshrrev_b32_e32 v56, 16, v39
	v_lshrrev_b32_e32 v57, 16, v40
	;; [unrolled: 1-line block ×11, first 2 shown]
	global_inv scope:SCOPE_SE
	v_lshrrev_b32_e32 v48, 16, v50
	v_lshrrev_b32_e32 v67, 16, v51
	v_lshrrev_b32_e32 v68, 16, v52
	v_lshrrev_b32_e32 v69, 16, v53
	v_lshrrev_b32_e32 v70, 16, v54
	v_lshrrev_b32_e32 v71, 16, v14
	v_lshrrev_b32_e32 v72, 16, v15
	v_lshrrev_b32_e32 v73, 16, v16
	v_lshrrev_b32_e32 v74, 16, v17
	v_lshrrev_b32_e32 v75, 16, v21
	v_lshrrev_b32_e32 v76, 16, v22
	v_lshrrev_b32_e32 v77, 16, v23
	v_lshrrev_b32_e32 v78, 16, v24
	v_lshrrev_b32_e32 v79, 16, v35
	v_lshrrev_b32_e32 v80, 16, v36
	v_lshrrev_b32_e32 v81, 16, v37
	v_lshrrev_b32_e32 v82, 16, v38
	v_lshrrev_b32_e32 v83, 16, v25
	v_lshrrev_b32_e32 v84, 16, v26
	v_lshrrev_b32_e32 v85, 16, v27
	v_mul_f16_e32 v86, v71, v68
	v_mul_f16_e32 v71, v71, v52
	;; [unrolled: 1-line block ×12, first 2 shown]
	v_fmac_f16_e32 v86, v14, v52
	v_mul_f16_e32 v52, v57, v77
	v_mul_f16_e32 v77, v40, v77
	v_fma_f16 v14, v14, v68, -v71
	v_mul_f16_e32 v68, v58, v78
	v_mul_f16_e32 v71, v41, v78
	v_fmac_f16_e32 v87, v15, v53
	v_mul_f16_e32 v53, v59, v79
	v_mul_f16_e32 v78, v42, v79
	v_fma_f16 v15, v15, v69, -v72
	v_mul_f16_e32 v69, v60, v80
	v_mul_f16_e32 v72, v43, v80
	;; [unrolled: 6-line block ×4, first 2 shown]
	v_mul_f16_e32 v81, v65, v85
	v_mul_f16_e32 v82, v19, v85
	v_fmac_f16_e32 v90, v51, v21
	v_fma_f16 v21, v67, v21, -v75
	v_fmac_f16_e32 v91, v39, v22
	v_fma_f16 v22, v56, v22, -v76
	;; [unrolled: 2-line block ×11, first 2 shown]
	v_sub_f16_e32 v26, v49, v68
	v_sub_f16_e32 v24, v66, v24
	;; [unrolled: 1-line block ×16, first 2 shown]
	v_fma_f16 v45, v49, 2.0, -v26
	v_fma_f16 v48, v89, 2.0, -v27
	;; [unrolled: 1-line block ×12, first 2 shown]
	v_add_f16_e32 v38, v26, v38
	v_sub_f16_e32 v27, v24, v27
	v_add_f16_e32 v18, v39, v18
	v_sub_f16_e32 v40, v36, v40
	;; [unrolled: 2-line block ×4, first 2 shown]
	v_fma_f16 v46, v66, 2.0, -v24
	v_fma_f16 v15, v15, 2.0, -v36
	;; [unrolled: 1-line block ×4, first 2 shown]
	v_sub_f16_e32 v48, v45, v48
	v_fma_f16 v26, v26, 2.0, -v38
	v_fma_f16 v24, v24, 2.0, -v27
	v_sub_f16_e32 v50, v49, v50
	v_fma_f16 v39, v39, 2.0, -v18
	v_fma_f16 v36, v36, 2.0, -v40
	;; [unrolled: 3-line block ×4, first 2 shown]
	v_fmamk_f16 v52, v18, 0x39a8, v38
	v_fmamk_f16 v57, v40, 0x39a8, v27
	v_sub_f16_e32 v17, v46, v17
	v_sub_f16_e32 v22, v15, v22
	;; [unrolled: 1-line block ×4, first 2 shown]
	v_fmamk_f16 v58, v19, 0x39a8, v25
	v_fmamk_f16 v59, v44, 0x39a8, v42
	v_fma_f16 v45, v45, 2.0, -v48
	v_fma_f16 v49, v49, 2.0, -v50
	;; [unrolled: 1-line block ×4, first 2 shown]
	v_fmamk_f16 v60, v39, 0xb9a8, v26
	v_fmamk_f16 v61, v36, 0xb9a8, v24
	v_fmac_f16_e32 v52, 0x39a8, v40
	v_fmac_f16_e32 v57, 0xb9a8, v18
	v_fmamk_f16 v18, v43, 0xb9a8, v41
	v_fmamk_f16 v40, v37, 0xb9a8, v56
	v_fma_f16 v15, v15, 2.0, -v22
	v_fma_f16 v16, v16, 2.0, -v23
	v_add_f16_e32 v22, v48, v22
	v_sub_f16_e32 v50, v17, v50
	v_add_f16_e32 v23, v53, v23
	v_sub_f16_e32 v62, v21, v35
	v_fmac_f16_e32 v58, 0x39a8, v44
	v_fmac_f16_e32 v59, 0xb9a8, v19
	v_fma_f16 v46, v46, 2.0, -v17
	v_fma_f16 v14, v14, 2.0, -v21
	v_sub_f16_e32 v19, v45, v49
	v_fmac_f16_e32 v60, 0x39a8, v36
	v_fmac_f16_e32 v61, 0xb9a8, v39
	v_sub_f16_e32 v39, v51, v54
	v_fmac_f16_e32 v18, 0x39a8, v37
	v_fmac_f16_e32 v40, 0xb9a8, v43
	v_fma_f16 v36, v48, 2.0, -v22
	v_fma_f16 v17, v17, 2.0, -v50
	;; [unrolled: 1-line block ×8, first 2 shown]
	v_sub_f16_e32 v44, v46, v15
	v_sub_f16_e32 v16, v14, v16
	v_fmamk_f16 v43, v23, 0x39a8, v22
	v_fmamk_f16 v48, v62, 0x39a8, v50
	;; [unrolled: 1-line block ×4, first 2 shown]
	v_fma_f16 v45, v45, 2.0, -v19
	v_fma_f16 v26, v26, 2.0, -v60
	;; [unrolled: 1-line block ×6, first 2 shown]
	v_fmamk_f16 v53, v37, 0xb9a8, v36
	v_fmamk_f16 v54, v21, 0xb9a8, v17
	;; [unrolled: 1-line block ×6, first 2 shown]
	v_fma_f16 v14, v14, 2.0, -v16
	v_add_f16_e32 v16, v19, v16
	v_sub_f16_e32 v39, v44, v39
	v_fmac_f16_e32 v43, 0x39a8, v62
	v_fmac_f16_e32 v48, 0xb9a8, v23
	;; [unrolled: 1-line block ×4, first 2 shown]
	v_fma_f16 v46, v46, 2.0, -v44
	v_sub_f16_e32 v23, v45, v49
	v_fmamk_f16 v49, v41, 0xbb64, v26
	v_fmamk_f16 v58, v51, 0xbb64, v24
	v_fmac_f16_e32 v53, 0x39a8, v21
	v_fmac_f16_e32 v54, 0xb9a8, v37
	;; [unrolled: 1-line block ×6, first 2 shown]
	v_fma_f16 v19, v19, 2.0, -v16
	v_fma_f16 v21, v44, 2.0, -v39
	;; [unrolled: 1-line block ×6, first 2 shown]
	v_sub_f16_e32 v14, v46, v14
	v_fmac_f16_e32 v49, 0x361f, v51
	v_fmac_f16_e32 v58, 0xb61f, v41
	v_fma_f16 v36, v36, 2.0, -v53
	v_fma_f16 v17, v17, 2.0, -v54
	;; [unrolled: 1-line block ×6, first 2 shown]
	v_pack_b32_f16 v19, v19, v21
	v_pack_b32_f16 v18, v18, v22
	;; [unrolled: 1-line block ×5, first 2 shown]
	v_fma_f16 v42, v45, 2.0, -v23
	v_fma_f16 v43, v46, 2.0, -v14
	;; [unrolled: 1-line block ×4, first 2 shown]
	v_pack_b32_f16 v40, v15, v35
	v_pack_b32_f16 v14, v23, v14
	;; [unrolled: 1-line block ×8, first 2 shown]
	ds_store_2addr_b32 v47, v18, v21 offset0:18 offset1:21
	v_pack_b32_f16 v18, v49, v58
	v_pack_b32_f16 v37, v42, v43
	;; [unrolled: 1-line block ×3, first 2 shown]
	ds_store_2addr_b32 v47, v39, v40 offset0:42 offset1:45
	ds_store_2addr_b32 v47, v22, v23 offset0:30 offset1:33
	;; [unrolled: 1-line block ×6, first 2 shown]
	ds_store_2addr_b32 v47, v37, v21 offset1:3
	global_wb scope:SCOPE_SE
	s_wait_dscnt 0x0
	s_barrier_signal -1
	s_barrier_wait -1
	global_inv scope:SCOPE_SE
	ds_load_2addr_b32 v[26:27], v1 offset0:144 offset1:171
	ds_load_2addr_b32 v[18:19], v55 offset0:124 offset1:160
	;; [unrolled: 1-line block ×5, first 2 shown]
	ds_load_b32 v40, v28
	ds_load_b32 v39, v30
	;; [unrolled: 1-line block ×5, first 2 shown]
	v_lshrrev_b32_e32 v14, 16, v33
	s_and_saveexec_b32 s1, s0
	s_cbranch_execz .LBB0_17
; %bb.16:
	v_add_nc_u32_e32 v13, 0x400, v1
	ds_load_b32 v15, v34
	ds_load_2addr_b32 v[13:14], v13 offset0:23 offset1:167
	s_wait_dscnt 0x1
	v_lshrrev_b32_e32 v35, 16, v15
	s_wait_dscnt 0x0
	v_lshrrev_b32_e32 v33, 16, v13
	v_lshrrev_b32_e32 v32, 16, v14
.LBB0_17:
	s_wait_alu 0xfffe
	s_or_b32 exec_lo, exec_lo, s1
	v_subrev_nc_u32_e32 v43, 21, v0
	v_cmp_gt_u32_e64 s1, 21, v0
	v_dual_mov_b32 v42, 0 :: v_dual_lshlrev_b32 v41, 1, v0
	v_and_b32_e32 v47, 0xff, v8
	v_and_b32_e32 v48, 0xff, v6
	s_wait_alu 0xf1ff
	v_cndmask_b32_e64 v55, v43, v12, s1
	v_dual_mov_b32 v44, v42 :: v_dual_and_b32 v49, 0xff, v4
	v_lshlrev_b64_e32 v[16:17], 2, v[41:42]
	v_add_nc_u32_e32 v41, 12, v41
	s_delay_alu instid0(VALU_DEP_4)
	v_lshlrev_b32_e32 v43, 1, v55
	v_mul_lo_u16 v47, 0xab, v47
	v_mul_lo_u16 v48, 0xab, v48
	;; [unrolled: 1-line block ×3, first 2 shown]
	v_add_co_u32 v16, s1, s4, v16
	v_lshlrev_b64_e32 v[43:44], 2, v[43:44]
	v_lshlrev_b64_e32 v[41:42], 2, v[41:42]
	s_wait_alu 0xf1ff
	v_add_co_ci_u32_e64 v17, s1, s5, v17, s1
	v_lshrrev_b16 v56, 13, v47
	v_lshrrev_b16 v47, 13, v48
	v_add_co_u32 v43, s1, s4, v43
	s_wait_alu 0xf1ff
	v_add_co_ci_u32_e64 v44, s1, s5, v44, s1
	v_lshrrev_b16 v48, 13, v49
	v_add_co_u32 v41, s1, s4, v41
	s_wait_alu 0xf1ff
	v_add_co_ci_u32_e64 v42, s1, s5, v42, s1
	v_mul_lo_u16 v49, v56, 48
	v_mul_lo_u16 v50, v47, 48
	;; [unrolled: 1-line block ×3, first 2 shown]
	s_clause 0x2
	global_load_b64 v[45:46], v[16:17], off offset:180
	global_load_b64 v[47:48], v[41:42], off offset:180
	;; [unrolled: 1-line block ×3, first 2 shown]
	v_sub_nc_u16 v41, v8, v49
	v_sub_nc_u16 v42, v6, v50
	;; [unrolled: 1-line block ×3, first 2 shown]
	v_cmp_lt_u32_e64 s1, 20, v0
	v_lshlrev_b32_e32 v55, 2, v55
	v_and_b32_e32 v57, 0xff, v41
	v_and_b32_e32 v42, 0xff, v42
	;; [unrolled: 1-line block ×3, first 2 shown]
	s_wait_alu 0xf1ff
	v_cndmask_b32_e64 v66, 0, 0x240, s1
	v_and_b32_e32 v56, 0xffff, v56
	v_lshlrev_b32_e32 v49, 3, v57
	v_lshlrev_b32_e32 v51, 3, v42
	;; [unrolled: 1-line block ×3, first 2 shown]
	s_clause 0x2
	global_load_b64 v[49:50], v49, s[4:5] offset:180
	global_load_b64 v[51:52], v51, s[4:5] offset:180
	global_load_b64 v[53:54], v53, s[4:5] offset:180
	v_add_nc_u32_e32 v66, 0, v66
	s_wait_dscnt 0x9
	v_lshrrev_b32_e32 v67, 16, v26
	s_wait_dscnt 0x8
	v_lshrrev_b32_e32 v68, 16, v19
	v_mad_u32_u24 v56, 0x240, v56, 0
	v_lshlrev_b32_e32 v57, 2, v57
	v_add3_u32 v55, v66, v55, v31
	s_wait_dscnt 0x4
	v_lshrrev_b32_e32 v58, 16, v40
	v_lshrrev_b32_e32 v69, 16, v27
	;; [unrolled: 1-line block ×3, first 2 shown]
	v_add3_u32 v56, v56, v57, v31
	v_lshrrev_b32_e32 v71, 16, v22
	v_lshrrev_b32_e32 v72, 16, v25
	;; [unrolled: 1-line block ×6, first 2 shown]
	s_wait_dscnt 0x3
	v_lshrrev_b32_e32 v59, 16, v39
	s_wait_dscnt 0x2
	v_lshrrev_b32_e32 v60, 16, v38
	;; [unrolled: 2-line block ×4, first 2 shown]
	v_lshlrev_b32_e32 v42, 2, v42
	global_wb scope:SCOPE_SE
	s_wait_loadcnt 0x0
	s_barrier_signal -1
	s_barrier_wait -1
	global_inv scope:SCOPE_SE
	v_add3_u32 v42, 0, v42, v31
	s_delay_alu instid0(VALU_DEP_1) | instskip(SKIP_2) | instid1(VALU_DEP_2)
	v_add_nc_u32_e32 v76, 0x400, v42
	v_lshrrev_b32_e32 v66, 16, v45
	v_lshrrev_b32_e32 v74, 16, v46
	v_mul_f16_e32 v57, v66, v67
	v_mul_f16_e32 v66, v66, v26
	s_delay_alu instid0(VALU_DEP_3) | instskip(SKIP_1) | instid1(VALU_DEP_4)
	v_mul_f16_e32 v75, v74, v68
	v_mul_f16_e32 v74, v74, v19
	v_fmac_f16_e32 v57, v45, v26
	s_delay_alu instid0(VALU_DEP_4) | instskip(NEXT) | instid1(VALU_DEP_4)
	v_fma_f16 v26, v45, v67, -v66
	v_fmac_f16_e32 v75, v46, v19
	v_lshrrev_b32_e32 v19, 16, v43
	v_fma_f16 v45, v46, v68, -v74
	v_lshrrev_b32_e32 v46, 16, v44
	v_lshrrev_b32_e32 v66, 16, v47
	;; [unrolled: 1-line block ×3, first 2 shown]
	v_mul_f16_e32 v68, v19, v69
	v_mul_f16_e32 v19, v19, v27
	v_mul_f16_e32 v74, v46, v70
	v_mul_f16_e32 v46, v46, v24
	v_add_f16_e32 v80, v57, v75
	v_sub_f16_e32 v81, v26, v45
	v_add_f16_e32 v82, v58, v26
	v_add_f16_e32 v26, v26, v45
	v_lshrrev_b32_e32 v83, 16, v49
	v_lshrrev_b32_e32 v84, 16, v50
	v_mul_f16_e32 v77, v66, v71
	v_mul_f16_e32 v66, v66, v22
	;; [unrolled: 1-line block ×4, first 2 shown]
	v_lshrrev_b32_e32 v85, 16, v51
	v_lshrrev_b32_e32 v86, 16, v52
	;; [unrolled: 1-line block ×4, first 2 shown]
	v_add_f16_e32 v79, v40, v57
	v_fmac_f16_e32 v68, v43, v27
	v_fma_f16 v19, v43, v69, -v19
	v_fmac_f16_e32 v74, v44, v24
	v_fma_f16 v24, v44, v70, -v46
	v_fmac_f16_e32 v40, -0.5, v80
	v_add_f16_e32 v43, v82, v45
	v_fmac_f16_e32 v58, -0.5, v26
	v_mul_f16_e32 v26, v83, v73
	v_mul_f16_e32 v44, v83, v23
	;; [unrolled: 1-line block ×4, first 2 shown]
	v_fmac_f16_e32 v77, v47, v22
	v_fma_f16 v22, v47, v71, -v66
	v_fmac_f16_e32 v78, v48, v25
	v_fma_f16 v25, v48, v72, -v67
	v_mul_f16_e32 v47, v64, v85
	v_mul_f16_e32 v48, v18, v85
	;; [unrolled: 1-line block ×4, first 2 shown]
	v_sub_f16_e32 v57, v57, v75
	v_mul_f16_e32 v69, v33, v87
	v_mul_f16_e32 v70, v13, v87
	;; [unrolled: 1-line block ×4, first 2 shown]
	v_add_f16_e32 v27, v79, v75
	v_fmamk_f16 v75, v81, 0xbaee, v40
	v_fmac_f16_e32 v40, 0x3aee, v81
	v_add_f16_e32 v80, v68, v74
	v_sub_f16_e32 v81, v19, v24
	v_add_f16_e32 v82, v59, v19
	v_add_f16_e32 v19, v19, v24
	v_fmac_f16_e32 v26, v49, v23
	v_fma_f16 v23, v49, v73, -v44
	v_fmac_f16_e32 v45, v20, v50
	v_fma_f16 v20, v62, v50, -v46
	v_add_f16_e32 v84, v77, v78
	v_sub_f16_e32 v85, v22, v25
	v_add_f16_e32 v86, v60, v22
	v_add_f16_e32 v22, v22, v25
	v_fmac_f16_e32 v47, v18, v51
	v_fma_f16 v18, v64, v51, -v48
	v_fmac_f16_e32 v66, v21, v52
	v_fma_f16 v21, v65, v52, -v67
	v_fmamk_f16 v79, v57, 0x3aee, v58
	v_fmac_f16_e32 v58, 0xbaee, v57
	v_fmac_f16_e32 v69, v13, v53
	v_fma_f16 v13, v33, v53, -v70
	v_fmac_f16_e32 v71, v14, v54
	v_fma_f16 v14, v32, v54, -v72
	v_add_f16_e32 v57, v39, v68
	v_sub_f16_e32 v68, v68, v74
	v_add_f16_e32 v83, v38, v77
	v_pack_b32_f16 v27, v27, v43
	v_fmac_f16_e32 v39, -0.5, v80
	v_fmac_f16_e32 v59, -0.5, v19
	v_add_f16_e32 v43, v26, v45
	v_sub_f16_e32 v44, v23, v20
	v_add_f16_e32 v46, v61, v23
	v_add_f16_e32 v23, v23, v20
	v_sub_f16_e32 v77, v77, v78
	v_fmac_f16_e32 v38, -0.5, v84
	v_fmac_f16_e32 v60, -0.5, v22
	v_add_f16_e32 v49, v47, v66
	v_sub_f16_e32 v50, v18, v21
	v_add_f16_e32 v51, v63, v18
	v_add_f16_e32 v18, v18, v21
	v_pack_b32_f16 v33, v40, v58
	v_add_f16_e32 v53, v69, v71
	v_add_f16_e32 v58, v13, v14
	;; [unrolled: 1-line block ×6, first 2 shown]
	v_pack_b32_f16 v22, v75, v79
	v_add_f16_e32 v40, v37, v26
	v_sub_f16_e32 v26, v26, v45
	v_fmamk_f16 v64, v81, 0xbaee, v39
	v_fmac_f16_e32 v39, 0x3aee, v81
	v_fmamk_f16 v65, v68, 0x3aee, v59
	v_fmac_f16_e32 v59, 0xbaee, v68
	v_fmac_f16_e32 v37, -0.5, v43
	v_fmac_f16_e32 v61, -0.5, v23
	v_add_f16_e32 v48, v36, v47
	v_sub_f16_e32 v47, v47, v66
	v_fmamk_f16 v67, v85, 0xbaee, v38
	v_fmamk_f16 v68, v77, 0x3aee, v60
	v_fmac_f16_e32 v36, -0.5, v49
	v_fmac_f16_e32 v63, -0.5, v18
	v_add_f16_e32 v52, v15, v69
	v_sub_f16_e32 v54, v13, v14
	v_add_f16_e32 v57, v35, v13
	v_sub_f16_e32 v62, v69, v71
	v_fmac_f16_e32 v38, 0x3aee, v85
	v_fmac_f16_e32 v60, 0xbaee, v77
	v_fmac_f16_e32 v15, -0.5, v53
	v_fmac_f16_e32 v35, -0.5, v58
	ds_store_2addr_b32 v1, v27, v22 offset1:48
	ds_store_b32 v1, v33 offset:384
	v_pack_b32_f16 v22, v32, v24
	v_pack_b32_f16 v19, v19, v25
	v_add_f16_e32 v24, v40, v45
	v_add_f16_e32 v20, v46, v20
	v_pack_b32_f16 v18, v64, v65
	v_pack_b32_f16 v25, v39, v59
	v_fmamk_f16 v39, v44, 0xbaee, v37
	v_fmamk_f16 v40, v26, 0x3aee, v61
	v_fmac_f16_e32 v37, 0x3aee, v44
	v_fmac_f16_e32 v61, 0xbaee, v26
	v_add_f16_e32 v23, v48, v66
	v_add_f16_e32 v21, v51, v21
	v_pack_b32_f16 v27, v67, v68
	v_fmamk_f16 v26, v50, 0xbaee, v36
	v_fmamk_f16 v43, v47, 0x3aee, v63
	v_fmac_f16_e32 v36, 0x3aee, v50
	v_fmac_f16_e32 v63, 0xbaee, v47
	v_add_f16_e32 v13, v52, v71
	v_add_f16_e32 v32, v57, v14
	v_pack_b32_f16 v38, v38, v60
	v_fmamk_f16 v14, v54, 0xbaee, v15
	v_fmac_f16_e32 v15, 0x3aee, v54
	v_fmamk_f16 v33, v62, 0x3aee, v35
	v_fmac_f16_e32 v35, 0xbaee, v62
	v_pack_b32_f16 v20, v24, v20
	ds_store_2addr_b32 v55, v22, v18 offset1:48
	ds_store_b32 v55, v25 offset:384
	ds_store_2addr_b32 v1, v19, v27 offset0:150 offset1:198
	v_pack_b32_f16 v18, v39, v40
	v_pack_b32_f16 v19, v37, v61
	;; [unrolled: 1-line block ×5, first 2 shown]
	ds_store_b32 v1, v38 offset:984
	ds_store_2addr_b32 v56, v20, v18 offset1:48
	ds_store_b32 v56, v19 offset:384
	ds_store_2addr_b32 v76, v21, v22 offset0:32 offset1:80
	ds_store_b32 v42, v23 offset:1536
	s_and_saveexec_b32 s1, s0
	s_cbranch_execz .LBB0_19
; %bb.18:
	v_lshlrev_b32_e32 v18, 2, v41
	v_perm_b32 v19, v32, v13, 0x5040100
	v_perm_b32 v20, v33, v14, 0x5040100
	;; [unrolled: 1-line block ×3, first 2 shown]
	s_delay_alu instid0(VALU_DEP_4) | instskip(NEXT) | instid1(VALU_DEP_1)
	v_add3_u32 v18, 0, v18, v31
	v_add_nc_u32_e32 v21, 0x400, v18
	ds_store_2addr_b32 v21, v19, v20 offset0:32 offset1:80
	ds_store_b32 v18, v22 offset:1536
.LBB0_19:
	s_wait_alu 0xfffe
	s_or_b32 exec_lo, exec_lo, s1
	v_add_nc_u32_e32 v18, 0x200, v1
	v_add_nc_u32_e32 v20, 0x400, v1
	global_wb scope:SCOPE_SE
	s_wait_dscnt 0x0
	s_barrier_signal -1
	s_barrier_wait -1
	global_inv scope:SCOPE_SE
	ds_load_2addr_b32 v[26:27], v1 offset0:144 offset1:171
	ds_load_2addr_b32 v[18:19], v18 offset0:124 offset1:160
	;; [unrolled: 1-line block ×5, first 2 shown]
	ds_load_b32 v39, v28
	ds_load_b32 v38, v30
	;; [unrolled: 1-line block ×5, first 2 shown]
	s_and_saveexec_b32 s1, s0
	s_cbranch_execz .LBB0_21
; %bb.20:
	v_add_nc_u32_e32 v14, 0x400, v1
	ds_load_b32 v13, v34
	ds_load_2addr_b32 v[14:15], v14 offset0:23 offset1:167
	s_wait_dscnt 0x1
	v_lshrrev_b32_e32 v32, 16, v13
	s_wait_dscnt 0x0
	v_lshrrev_b32_e32 v33, 16, v14
	v_lshrrev_b32_e32 v35, 16, v15
.LBB0_21:
	s_wait_alu 0xfffe
	s_or_b32 exec_lo, exec_lo, s1
	global_load_b64 v[40:41], v[16:17], off offset:564
	v_dual_mov_b32 v17, 0 :: v_dual_lshlrev_b32 v16, 1, v12
	s_wait_dscnt 0x9
	v_lshrrev_b32_e32 v60, 16, v26
	s_wait_dscnt 0x8
	v_lshrrev_b32_e32 v62, 16, v19
	;; [unrolled: 2-line block ×3, first 2 shown]
	v_lshrrev_b32_e32 v64, 16, v27
	v_lshlrev_b64_e32 v[42:43], 2, v[16:17]
	v_lshlrev_b32_e32 v16, 1, v10
	v_lshrrev_b32_e32 v57, 16, v25
	s_wait_dscnt 0x6
	v_lshrrev_b32_e32 v58, 16, v22
	s_wait_dscnt 0x3
	v_lshrrev_b32_e32 v34, 16, v38
	v_lshrrev_b32_e32 v52, 16, v20
	v_lshlrev_b64_e32 v[44:45], 2, v[16:17]
	v_lshlrev_b32_e32 v16, 1, v8
	v_add_co_u32 v42, s1, s4, v42
	s_wait_alu 0xf1ff
	v_add_co_ci_u32_e64 v43, s1, s5, v43, s1
	s_delay_alu instid0(VALU_DEP_3)
	v_lshlrev_b64_e32 v[46:47], 2, v[16:17]
	v_lshlrev_b32_e32 v16, 1, v6
	v_add_co_u32 v44, s1, s4, v44
	global_load_b64 v[42:43], v[42:43], off offset:564
	s_wait_alu 0xf1ff
	v_add_co_ci_u32_e64 v45, s1, s5, v45, s1
	v_lshlrev_b64_e32 v[48:49], 2, v[16:17]
	v_add_co_u32 v46, s1, s4, v46
	global_load_b64 v[44:45], v[44:45], off offset:564
	s_wait_alu 0xf1ff
	v_add_co_ci_u32_e64 v47, s1, s5, v47, s1
	v_add_co_u32 v48, s1, s4, v48
	s_wait_alu 0xf1ff
	v_add_co_ci_u32_e64 v49, s1, s5, v49, s1
	global_load_b64 v[46:47], v[46:47], off offset:564
	v_lshrrev_b32_e32 v16, 16, v39
	v_lshrrev_b32_e32 v56, 16, v23
	global_load_b64 v[48:49], v[48:49], off offset:564
	s_wait_dscnt 0x2
	v_lshrrev_b32_e32 v50, 16, v37
	v_lshrrev_b32_e32 v54, 16, v18
	v_lshrrev_b32_e32 v55, 16, v21
	global_wb scope:SCOPE_SE
	s_wait_loadcnt_dscnt 0x0
	s_barrier_signal -1
	s_barrier_wait -1
	global_inv scope:SCOPE_SE
	v_lshrrev_b32_e32 v51, 16, v36
	v_lshrrev_b32_e32 v53, 16, v31
	;; [unrolled: 1-line block ×4, first 2 shown]
	s_delay_alu instid0(VALU_DEP_2) | instskip(SKIP_1) | instid1(VALU_DEP_3)
	v_mul_f16_e32 v65, v61, v60
	v_mul_f16_e32 v61, v61, v26
	;; [unrolled: 1-line block ×4, first 2 shown]
	s_delay_alu instid0(VALU_DEP_4) | instskip(NEXT) | instid1(VALU_DEP_4)
	v_fmac_f16_e32 v65, v40, v26
	v_fma_f16 v26, v40, v60, -v61
	s_delay_alu instid0(VALU_DEP_4) | instskip(NEXT) | instid1(VALU_DEP_4)
	v_fmac_f16_e32 v66, v41, v19
	v_fma_f16 v19, v41, v62, -v63
	s_delay_alu instid0(VALU_DEP_4) | instskip(NEXT) | instid1(VALU_DEP_4)
	v_add_f16_e32 v40, v39, v65
	v_add_f16_e32 v61, v16, v26
	s_delay_alu instid0(VALU_DEP_4) | instskip(NEXT) | instid1(VALU_DEP_4)
	v_add_f16_e32 v41, v65, v66
	v_sub_f16_e32 v60, v26, v19
	v_add_f16_e32 v26, v26, v19
	v_sub_f16_e32 v62, v65, v66
	v_add_f16_e32 v40, v40, v66
	v_fmac_f16_e32 v39, -0.5, v41
	v_lshrrev_b32_e32 v63, 16, v42
	v_lshrrev_b32_e32 v65, 16, v43
	v_add_f16_e32 v19, v61, v19
	v_fmac_f16_e32 v16, -0.5, v26
	v_fmamk_f16 v67, v60, 0xbaee, v39
	v_mul_f16_e32 v26, v63, v64
	v_mul_f16_e32 v41, v63, v27
	;; [unrolled: 1-line block ×4, first 2 shown]
	v_lshrrev_b32_e32 v65, 16, v44
	v_lshrrev_b32_e32 v66, 16, v45
	v_fmac_f16_e32 v39, 0x3aee, v60
	v_fmamk_f16 v60, v62, 0x3aee, v16
	v_fmac_f16_e32 v16, 0xbaee, v62
	v_pack_b32_f16 v19, v40, v19
	v_fmac_f16_e32 v26, v42, v27
	v_fma_f16 v27, v42, v64, -v41
	v_fmac_f16_e32 v61, v43, v24
	v_fma_f16 v24, v43, v59, -v63
	v_mul_f16_e32 v40, v65, v58
	v_mul_f16_e32 v41, v65, v22
	;; [unrolled: 1-line block ×4, first 2 shown]
	v_lshrrev_b32_e32 v59, 16, v46
	v_lshrrev_b32_e32 v62, 16, v47
	v_pack_b32_f16 v60, v67, v60
	v_pack_b32_f16 v16, v39, v16
	v_fmac_f16_e32 v40, v44, v22
	v_fma_f16 v22, v44, v58, -v41
	v_fmac_f16_e32 v42, v45, v25
	v_fma_f16 v25, v45, v57, -v43
	v_mul_f16_e32 v39, v59, v56
	v_mul_f16_e32 v41, v59, v23
	;; [unrolled: 1-line block ×4, first 2 shown]
	v_lshrrev_b32_e32 v45, 16, v48
	v_lshrrev_b32_e32 v57, 16, v49
	v_sub_f16_e32 v62, v27, v24
	v_add_f16_e32 v63, v34, v27
	v_add_f16_e32 v27, v27, v24
	;; [unrolled: 1-line block ×4, first 2 shown]
	v_sub_f16_e32 v26, v26, v61
	ds_store_2addr_b32 v1, v19, v60 offset1:144
	ds_store_b32 v1, v16 offset:1152
	v_fmac_f16_e32 v39, v46, v23
	v_fma_f16 v16, v46, v56, -v41
	v_fmac_f16_e32 v43, v20, v47
	v_fma_f16 v19, v52, v47, -v44
	v_mul_f16_e32 v20, v54, v45
	v_mul_f16_e32 v23, v18, v45
	;; [unrolled: 1-line block ×4, first 2 shown]
	v_fmac_f16_e32 v34, -0.5, v27
	v_add_f16_e32 v27, v37, v40
	v_add_f16_e32 v46, v40, v42
	v_sub_f16_e32 v47, v22, v25
	v_add_f16_e32 v52, v50, v22
	v_add_f16_e32 v22, v22, v25
	;; [unrolled: 1-line block ×3, first 2 shown]
	v_fmac_f16_e32 v38, -0.5, v59
	v_add_f16_e32 v24, v63, v24
	v_sub_f16_e32 v40, v40, v42
	v_fmac_f16_e32 v20, v18, v48
	v_fma_f16 v18, v54, v48, -v23
	v_fmac_f16_e32 v41, v21, v49
	v_fma_f16 v21, v55, v49, -v44
	v_fmamk_f16 v44, v26, 0x3aee, v34
	v_fmac_f16_e32 v34, 0xbaee, v26
	v_add_f16_e32 v26, v27, v42
	v_fmac_f16_e32 v37, -0.5, v46
	v_fmac_f16_e32 v50, -0.5, v22
	v_add_f16_e32 v22, v36, v39
	v_add_f16_e32 v27, v39, v43
	v_sub_f16_e32 v42, v16, v19
	v_add_f16_e32 v46, v51, v16
	v_add_f16_e32 v16, v16, v19
	v_fmamk_f16 v23, v62, 0xbaee, v38
	v_sub_f16_e32 v39, v39, v43
	v_pack_b32_f16 v24, v45, v24
	v_fmamk_f16 v45, v47, 0xbaee, v37
	v_fmac_f16_e32 v37, 0x3aee, v47
	v_fmamk_f16 v47, v40, 0x3aee, v50
	v_fmac_f16_e32 v50, 0xbaee, v40
	v_add_f16_e32 v22, v22, v43
	v_fmac_f16_e32 v36, -0.5, v27
	v_add_f16_e32 v27, v20, v41
	v_sub_f16_e32 v40, v18, v21
	v_add_f16_e32 v43, v53, v18
	v_add_f16_e32 v18, v18, v21
	v_fmac_f16_e32 v38, 0x3aee, v62
	v_add_f16_e32 v25, v52, v25
	v_fmac_f16_e32 v51, -0.5, v16
	v_add_f16_e32 v19, v46, v19
	v_add_f16_e32 v16, v31, v20
	v_sub_f16_e32 v20, v20, v41
	v_pack_b32_f16 v23, v23, v44
	v_fmac_f16_e32 v31, -0.5, v27
	v_fmac_f16_e32 v53, -0.5, v18
	v_pack_b32_f16 v34, v38, v34
	v_pack_b32_f16 v25, v26, v25
	v_fmamk_f16 v26, v42, 0xbaee, v36
	v_fmamk_f16 v38, v39, 0x3aee, v51
	v_pack_b32_f16 v18, v45, v47
	v_fmac_f16_e32 v36, 0x3aee, v42
	v_fmac_f16_e32 v51, 0xbaee, v39
	v_add_f16_e32 v16, v16, v41
	v_add_f16_e32 v21, v43, v21
	ds_store_2addr_b32 v30, v24, v23 offset1:144
	ds_store_b32 v30, v34 offset:1152
	v_pack_b32_f16 v19, v22, v19
	v_fmamk_f16 v22, v40, 0xbaee, v31
	v_fmamk_f16 v24, v20, 0x3aee, v53
	v_fmac_f16_e32 v31, 0x3aee, v40
	v_fmac_f16_e32 v53, 0xbaee, v20
	v_pack_b32_f16 v23, v37, v50
	ds_store_2addr_b32 v11, v25, v18 offset1:144
	v_pack_b32_f16 v18, v26, v38
	v_pack_b32_f16 v20, v36, v51
	;; [unrolled: 1-line block ×5, first 2 shown]
	ds_store_b32 v11, v23 offset:1152
	ds_store_2addr_b32 v9, v19, v18 offset1:144
	ds_store_b32 v9, v20 offset:1152
	ds_store_2addr_b32 v7, v16, v21 offset1:144
	ds_store_b32 v7, v22 offset:1152
	s_and_saveexec_b32 s1, s0
	s_cbranch_execz .LBB0_23
; %bb.22:
	v_add_nc_u32_e32 v7, -9, v0
	s_delay_alu instid0(VALU_DEP_1) | instskip(NEXT) | instid1(VALU_DEP_1)
	v_cndmask_b32_e64 v7, v7, v4, s0
	v_lshlrev_b32_e32 v16, 1, v7
	s_delay_alu instid0(VALU_DEP_1) | instskip(NEXT) | instid1(VALU_DEP_1)
	v_lshlrev_b64_e32 v[16:17], 2, v[16:17]
	v_add_co_u32 v16, s0, s4, v16
	s_wait_alu 0xf1ff
	s_delay_alu instid0(VALU_DEP_2) | instskip(SKIP_4) | instid1(VALU_DEP_2)
	v_add_co_ci_u32_e64 v17, s0, s5, v17, s0
	global_load_b64 v[16:17], v[16:17], off offset:564
	s_wait_loadcnt 0x0
	v_lshrrev_b32_e32 v7, 16, v17
	v_lshrrev_b32_e32 v9, 16, v16
	v_mul_f16_e32 v11, v15, v7
	s_delay_alu instid0(VALU_DEP_2) | instskip(SKIP_2) | instid1(VALU_DEP_4)
	v_mul_f16_e32 v18, v14, v9
	v_mul_f16_e32 v9, v33, v9
	;; [unrolled: 1-line block ×3, first 2 shown]
	v_fma_f16 v11, v35, v17, -v11
	s_delay_alu instid0(VALU_DEP_4) | instskip(NEXT) | instid1(VALU_DEP_4)
	v_fma_f16 v18, v33, v16, -v18
	v_fmac_f16_e32 v9, v14, v16
	s_delay_alu instid0(VALU_DEP_4) | instskip(NEXT) | instid1(VALU_DEP_3)
	v_fmac_f16_e32 v7, v15, v17
	v_add_f16_e32 v14, v18, v11
	v_add_f16_e32 v15, v32, v18
	s_delay_alu instid0(VALU_DEP_3)
	v_add_f16_e32 v16, v9, v7
	v_add_f16_e32 v17, v13, v9
	v_sub_f16_e32 v9, v9, v7
	v_fmac_f16_e32 v32, -0.5, v14
	v_sub_f16_e32 v14, v18, v11
	v_fmac_f16_e32 v13, -0.5, v16
	v_add_f16_e32 v11, v15, v11
	v_add_f16_e32 v7, v17, v7
	v_fmamk_f16 v15, v9, 0xbaee, v32
	v_fmac_f16_e32 v32, 0x3aee, v9
	v_fmamk_f16 v9, v14, 0x3aee, v13
	v_fmac_f16_e32 v13, 0xbaee, v14
	v_add_nc_u32_e32 v14, 0x200, v1
	v_pack_b32_f16 v7, v7, v11
	s_delay_alu instid0(VALU_DEP_4) | instskip(NEXT) | instid1(VALU_DEP_4)
	v_pack_b32_f16 v9, v9, v15
	v_pack_b32_f16 v11, v13, v32
	ds_store_2addr_b32 v14, v7, v11 offset0:7 offset1:151
	ds_store_b32 v1, v9 offset:1692
.LBB0_23:
	s_wait_alu 0xfffe
	s_or_b32 exec_lo, exec_lo, s1
	global_wb scope:SCOPE_SE
	s_wait_dscnt 0x0
	s_barrier_signal -1
	s_barrier_wait -1
	global_inv scope:SCOPE_SE
	ds_load_b32 v7, v28
	v_sub_nc_u32_e32 v16, v29, v5
	s_mov_b32 s1, exec_lo
                                        ; implicit-def: $vgpr18
                                        ; implicit-def: $vgpr17
                                        ; implicit-def: $vgpr19
                                        ; implicit-def: $vgpr14_vgpr15
	v_cmpx_ne_u32_e32 0, v0
	s_wait_alu 0xfffe
	s_xor_b32 s1, exec_lo, s1
	s_cbranch_execz .LBB0_25
; %bb.24:
	v_mov_b32_e32 v1, 0
	ds_load_b32 v9, v16 offset:1728
	v_lshlrev_b64_e32 v[13:14], 2, v[0:1]
	s_delay_alu instid0(VALU_DEP_1) | instskip(SKIP_1) | instid1(VALU_DEP_2)
	v_add_co_u32 v13, s0, s4, v13
	s_wait_alu 0xf1ff
	v_add_co_ci_u32_e64 v14, s0, s5, v14, s0
	global_load_b32 v5, v[13:14], off offset:1716
	s_wait_dscnt 0x0
	v_pk_add_f16 v11, v7, v9 neg_lo:[0,1] neg_hi:[0,1]
	v_pk_add_f16 v7, v9, v7
	s_delay_alu instid0(VALU_DEP_1) | instskip(SKIP_1) | instid1(VALU_DEP_2)
	v_bfi_b32 v9, 0xffff, v11, v7
	v_bfi_b32 v7, 0xffff, v7, v11
	v_pk_mul_f16 v9, v9, 0.5 op_sel_hi:[1,0]
	s_delay_alu instid0(VALU_DEP_2) | instskip(SKIP_1) | instid1(VALU_DEP_2)
	v_pk_mul_f16 v13, v7, 0.5 op_sel_hi:[1,0]
	s_wait_loadcnt 0x0
	v_pk_mul_f16 v11, v5, v9 op_sel:[1,0]
	v_pk_mul_f16 v5, v5, v9 op_sel_hi:[0,1]
	s_delay_alu instid0(VALU_DEP_3) | instskip(NEXT) | instid1(VALU_DEP_3)
	v_lshrrev_b32_e32 v9, 16, v13
	v_pk_fma_f16 v7, v7, 0.5, v11 op_sel_hi:[1,0,1]
	v_lshrrev_b32_e32 v14, 16, v11
	v_sub_f16_e32 v11, v13, v11
	v_lshrrev_b32_e32 v13, 16, v5
	s_delay_alu instid0(VALU_DEP_4) | instskip(SKIP_2) | instid1(VALU_DEP_4)
	v_pk_add_f16 v15, v7, v5 op_sel:[0,1] op_sel_hi:[1,0]
	v_pk_add_f16 v7, v7, v5 op_sel:[0,1] op_sel_hi:[1,0] neg_lo:[0,1] neg_hi:[0,1]
	v_sub_f16_e32 v9, v14, v9
	v_sub_f16_e32 v17, v11, v13
	s_delay_alu instid0(VALU_DEP_3) | instskip(NEXT) | instid1(VALU_DEP_3)
	v_bfi_b32 v18, 0xffff, v15, v7
	v_sub_f16_e32 v19, v9, v5
	v_dual_mov_b32 v15, v1 :: v_dual_mov_b32 v14, v0
                                        ; implicit-def: $vgpr7
.LBB0_25:
	s_wait_alu 0xfffe
	s_and_not1_saveexec_b32 s0, s1
	s_cbranch_execz .LBB0_27
; %bb.26:
	ds_load_u16 v1, v29 offset:866
	s_wait_dscnt 0x1
	s_wait_alu 0xfffe
	v_alignbit_b32 v5, s0, v7, 16
	v_lshrrev_b32_e32 v9, 16, v7
	v_dual_mov_b32 v14, 0 :: v_dual_mov_b32 v19, 0
	v_mov_b32_e32 v15, 0
	s_delay_alu instid0(VALU_DEP_4) | instskip(NEXT) | instid1(VALU_DEP_4)
	v_pk_add_f16 v5, v5, v7
	v_sub_f16_e32 v17, v7, v9
	s_delay_alu instid0(VALU_DEP_2)
	v_pack_b32_f16 v18, v5, 0
	s_wait_dscnt 0x0
	v_xor_b32_e32 v1, 0x8000, v1
	ds_store_b16 v29, v1 offset:866
.LBB0_27:
	s_wait_alu 0xfffe
	s_or_b32 exec_lo, exec_lo, s0
	v_mov_b32_e32 v13, 0
	ds_store_b16 v16, v19 offset:1730
	v_lshlrev_b64_e32 v[20:21], 2, v[12:13]
	v_mov_b32_e32 v11, v13
	v_mov_b32_e32 v9, v13
	s_wait_dscnt 0x1
	v_mov_b32_e32 v7, v13
	v_mov_b32_e32 v5, v13
	v_add_co_u32 v20, s0, s4, v20
	s_wait_alu 0xf1ff
	v_add_co_ci_u32_e64 v21, s0, s5, v21, s0
	global_load_b32 v1, v[20:21], off offset:1716
	v_lshlrev_b64_e32 v[20:21], 2, v[10:11]
	v_lshl_add_u32 v10, v10, 2, v29
	s_delay_alu instid0(VALU_DEP_2) | instskip(SKIP_1) | instid1(VALU_DEP_3)
	v_add_co_u32 v20, s0, s4, v20
	s_wait_alu 0xf1ff
	v_add_co_ci_u32_e64 v21, s0, s5, v21, s0
	global_load_b32 v22, v[20:21], off offset:1716
	v_lshlrev_b64_e32 v[20:21], 2, v[8:9]
	v_lshl_add_u32 v8, v8, 2, v29
	s_delay_alu instid0(VALU_DEP_2) | instskip(SKIP_1) | instid1(VALU_DEP_3)
	;; [unrolled: 7-line block ×4, first 2 shown]
	v_add_co_u32 v20, s0, s4, v20
	s_wait_alu 0xf1ff
	v_add_co_ci_u32_e64 v21, s0, s5, v21, s0
	s_add_nc_u64 s[0:1], s[4:5], 0x6b4
	global_load_b32 v5, v[20:21], off offset:1716
	v_lshl_add_u32 v20, v12, 2, v29
	v_lshlrev_b64_e32 v[11:12], 2, v[14:15]
	ds_store_b32 v28, v18
	ds_store_b16 v16, v17 offset:1728
	ds_load_b32 v15, v20
	ds_load_b32 v17, v16 offset:1620
	s_wait_alu 0xfffe
	v_add_co_u32 v13, s0, s0, v11
	s_wait_alu 0xf1ff
	v_add_co_ci_u32_e64 v14, s0, s1, v12, s0
	s_clause 0x1
	global_load_b32 v18, v[13:14], off offset:648
	global_load_b32 v13, v[13:14], off offset:756
	s_wait_dscnt 0x0
	v_pk_add_f16 v19, v15, v17 neg_lo:[0,1] neg_hi:[0,1]
	v_pk_add_f16 v15, v15, v17
	s_delay_alu instid0(VALU_DEP_1) | instskip(SKIP_1) | instid1(VALU_DEP_2)
	v_bfi_b32 v17, 0xffff, v19, v15
	v_bfi_b32 v15, 0xffff, v15, v19
	v_pk_mul_f16 v17, v17, 0.5 op_sel_hi:[1,0]
	s_delay_alu instid0(VALU_DEP_2) | instskip(SKIP_1) | instid1(VALU_DEP_1)
	v_pk_mul_f16 v15, v15, 0.5 op_sel_hi:[1,0]
	s_wait_loadcnt 0x6
	v_pk_fma_f16 v14, v1, v17, v15 op_sel:[1,0,0]
	v_pk_mul_f16 v19, v1, v17 op_sel_hi:[0,1]
	v_pk_fma_f16 v21, v1, v17, v15 op_sel:[1,0,0] neg_lo:[1,0,0] neg_hi:[1,0,0]
	v_pk_fma_f16 v1, v1, v17, v15 op_sel:[1,0,0] neg_lo:[0,0,1] neg_hi:[0,0,1]
	s_delay_alu instid0(VALU_DEP_3) | instskip(SKIP_1) | instid1(VALU_DEP_4)
	v_pk_add_f16 v15, v14, v19 op_sel:[0,1] op_sel_hi:[1,0]
	v_pk_add_f16 v14, v14, v19 op_sel:[0,1] op_sel_hi:[1,0] neg_lo:[0,1] neg_hi:[0,1]
	v_pk_add_f16 v17, v21, v19 op_sel:[0,1] op_sel_hi:[1,0] neg_lo:[0,1] neg_hi:[0,1]
	s_delay_alu instid0(VALU_DEP_4) | instskip(NEXT) | instid1(VALU_DEP_3)
	v_pk_add_f16 v1, v1, v19 op_sel:[0,1] op_sel_hi:[1,0] neg_lo:[0,1] neg_hi:[0,1]
	v_bfi_b32 v14, 0xffff, v15, v14
	s_delay_alu instid0(VALU_DEP_2)
	v_bfi_b32 v1, 0xffff, v17, v1
	ds_store_b32 v20, v14
	ds_store_b32 v16, v1 offset:1620
	ds_load_b32 v1, v10
	ds_load_b32 v14, v16 offset:1512
	s_wait_dscnt 0x0
	v_pk_add_f16 v15, v1, v14 neg_lo:[0,1] neg_hi:[0,1]
	v_pk_add_f16 v1, v1, v14
	s_delay_alu instid0(VALU_DEP_1) | instskip(SKIP_1) | instid1(VALU_DEP_2)
	v_bfi_b32 v14, 0xffff, v15, v1
	v_bfi_b32 v1, 0xffff, v1, v15
	v_pk_mul_f16 v14, v14, 0.5 op_sel_hi:[1,0]
	s_delay_alu instid0(VALU_DEP_2) | instskip(SKIP_1) | instid1(VALU_DEP_2)
	v_pk_mul_f16 v1, v1, 0.5 op_sel_hi:[1,0]
	s_wait_loadcnt 0x5
	v_pk_mul_f16 v17, v22, v14 op_sel_hi:[0,1]
	s_delay_alu instid0(VALU_DEP_2) | instskip(SKIP_2) | instid1(VALU_DEP_3)
	v_pk_fma_f16 v15, v22, v14, v1 op_sel:[1,0,0]
	v_pk_fma_f16 v19, v22, v14, v1 op_sel:[1,0,0] neg_lo:[1,0,0] neg_hi:[1,0,0]
	v_pk_fma_f16 v1, v22, v14, v1 op_sel:[1,0,0] neg_lo:[0,0,1] neg_hi:[0,0,1]
	v_pk_add_f16 v14, v15, v17 op_sel:[0,1] op_sel_hi:[1,0]
	v_pk_add_f16 v15, v15, v17 op_sel:[0,1] op_sel_hi:[1,0] neg_lo:[0,1] neg_hi:[0,1]
	s_delay_alu instid0(VALU_DEP_4) | instskip(NEXT) | instid1(VALU_DEP_4)
	v_pk_add_f16 v19, v19, v17 op_sel:[0,1] op_sel_hi:[1,0] neg_lo:[0,1] neg_hi:[0,1]
	v_pk_add_f16 v1, v1, v17 op_sel:[0,1] op_sel_hi:[1,0] neg_lo:[0,1] neg_hi:[0,1]
	s_delay_alu instid0(VALU_DEP_3) | instskip(NEXT) | instid1(VALU_DEP_2)
	v_bfi_b32 v14, 0xffff, v14, v15
	v_bfi_b32 v1, 0xffff, v19, v1
	ds_store_b32 v10, v14
	ds_store_b32 v16, v1 offset:1512
	ds_load_b32 v1, v8
	ds_load_b32 v10, v16 offset:1404
	s_wait_dscnt 0x0
	v_pk_add_f16 v14, v1, v10 neg_lo:[0,1] neg_hi:[0,1]
	v_pk_add_f16 v1, v1, v10
	s_delay_alu instid0(VALU_DEP_1) | instskip(SKIP_1) | instid1(VALU_DEP_2)
	v_bfi_b32 v10, 0xffff, v14, v1
	v_bfi_b32 v1, 0xffff, v1, v14
	v_pk_mul_f16 v10, v10, 0.5 op_sel_hi:[1,0]
	s_delay_alu instid0(VALU_DEP_2) | instskip(SKIP_1) | instid1(VALU_DEP_2)
	v_pk_mul_f16 v1, v1, 0.5 op_sel_hi:[1,0]
	s_wait_loadcnt 0x4
	v_pk_mul_f16 v15, v9, v10 op_sel_hi:[0,1]
	s_delay_alu instid0(VALU_DEP_2) | instskip(SKIP_2) | instid1(VALU_DEP_3)
	v_pk_fma_f16 v14, v9, v10, v1 op_sel:[1,0,0]
	v_pk_fma_f16 v17, v9, v10, v1 op_sel:[1,0,0] neg_lo:[1,0,0] neg_hi:[1,0,0]
	v_pk_fma_f16 v1, v9, v10, v1 op_sel:[1,0,0] neg_lo:[0,0,1] neg_hi:[0,0,1]
	v_pk_add_f16 v9, v14, v15 op_sel:[0,1] op_sel_hi:[1,0]
	v_pk_add_f16 v10, v14, v15 op_sel:[0,1] op_sel_hi:[1,0] neg_lo:[0,1] neg_hi:[0,1]
	s_delay_alu instid0(VALU_DEP_4) | instskip(NEXT) | instid1(VALU_DEP_4)
	v_pk_add_f16 v14, v17, v15 op_sel:[0,1] op_sel_hi:[1,0] neg_lo:[0,1] neg_hi:[0,1]
	v_pk_add_f16 v1, v1, v15 op_sel:[0,1] op_sel_hi:[1,0] neg_lo:[0,1] neg_hi:[0,1]
	s_delay_alu instid0(VALU_DEP_3) | instskip(NEXT) | instid1(VALU_DEP_2)
	v_bfi_b32 v9, 0xffff, v9, v10
	v_bfi_b32 v1, 0xffff, v14, v1
	ds_store_b32 v8, v9
	ds_store_b32 v16, v1 offset:1404
	ds_load_b32 v1, v6
	ds_load_b32 v8, v16 offset:1296
	s_wait_dscnt 0x0
	v_pk_add_f16 v9, v1, v8 neg_lo:[0,1] neg_hi:[0,1]
	v_pk_add_f16 v1, v1, v8
	s_delay_alu instid0(VALU_DEP_1) | instskip(SKIP_1) | instid1(VALU_DEP_2)
	v_bfi_b32 v8, 0xffff, v9, v1
	v_bfi_b32 v1, 0xffff, v1, v9
	v_pk_mul_f16 v8, v8, 0.5 op_sel_hi:[1,0]
	s_delay_alu instid0(VALU_DEP_2) | instskip(SKIP_1) | instid1(VALU_DEP_2)
	v_pk_mul_f16 v1, v1, 0.5 op_sel_hi:[1,0]
	s_wait_loadcnt 0x3
	v_pk_mul_f16 v10, v7, v8 op_sel_hi:[0,1]
	s_delay_alu instid0(VALU_DEP_2) | instskip(SKIP_2) | instid1(VALU_DEP_3)
	v_pk_fma_f16 v9, v7, v8, v1 op_sel:[1,0,0]
	v_pk_fma_f16 v14, v7, v8, v1 op_sel:[1,0,0] neg_lo:[1,0,0] neg_hi:[1,0,0]
	v_pk_fma_f16 v1, v7, v8, v1 op_sel:[1,0,0] neg_lo:[0,0,1] neg_hi:[0,0,1]
	v_pk_add_f16 v7, v9, v10 op_sel:[0,1] op_sel_hi:[1,0]
	v_pk_add_f16 v8, v9, v10 op_sel:[0,1] op_sel_hi:[1,0] neg_lo:[0,1] neg_hi:[0,1]
	s_delay_alu instid0(VALU_DEP_4) | instskip(NEXT) | instid1(VALU_DEP_4)
	v_pk_add_f16 v9, v14, v10 op_sel:[0,1] op_sel_hi:[1,0] neg_lo:[0,1] neg_hi:[0,1]
	v_pk_add_f16 v1, v1, v10 op_sel:[0,1] op_sel_hi:[1,0] neg_lo:[0,1] neg_hi:[0,1]
	s_delay_alu instid0(VALU_DEP_3) | instskip(NEXT) | instid1(VALU_DEP_2)
	v_bfi_b32 v7, 0xffff, v7, v8
	v_bfi_b32 v1, 0xffff, v9, v1
	ds_store_b32 v6, v7
	ds_store_b32 v16, v1 offset:1296
	ds_load_b32 v1, v4
	ds_load_b32 v6, v16 offset:1188
	s_wait_dscnt 0x0
	v_pk_add_f16 v7, v1, v6 neg_lo:[0,1] neg_hi:[0,1]
	v_pk_add_f16 v1, v1, v6
	s_delay_alu instid0(VALU_DEP_1) | instskip(SKIP_1) | instid1(VALU_DEP_2)
	v_bfi_b32 v6, 0xffff, v7, v1
	v_bfi_b32 v1, 0xffff, v1, v7
	v_pk_mul_f16 v6, v6, 0.5 op_sel_hi:[1,0]
	s_delay_alu instid0(VALU_DEP_2) | instskip(SKIP_1) | instid1(VALU_DEP_2)
	v_pk_mul_f16 v1, v1, 0.5 op_sel_hi:[1,0]
	s_wait_loadcnt 0x2
	v_pk_mul_f16 v8, v5, v6 op_sel_hi:[0,1]
	s_delay_alu instid0(VALU_DEP_2) | instskip(SKIP_2) | instid1(VALU_DEP_3)
	v_pk_fma_f16 v7, v5, v6, v1 op_sel:[1,0,0]
	v_pk_fma_f16 v9, v5, v6, v1 op_sel:[1,0,0] neg_lo:[1,0,0] neg_hi:[1,0,0]
	v_pk_fma_f16 v1, v5, v6, v1 op_sel:[1,0,0] neg_lo:[0,0,1] neg_hi:[0,0,1]
	v_pk_add_f16 v5, v7, v8 op_sel:[0,1] op_sel_hi:[1,0]
	v_pk_add_f16 v6, v7, v8 op_sel:[0,1] op_sel_hi:[1,0] neg_lo:[0,1] neg_hi:[0,1]
	s_delay_alu instid0(VALU_DEP_4) | instskip(NEXT) | instid1(VALU_DEP_4)
	v_pk_add_f16 v7, v9, v8 op_sel:[0,1] op_sel_hi:[1,0] neg_lo:[0,1] neg_hi:[0,1]
	v_pk_add_f16 v1, v1, v8 op_sel:[0,1] op_sel_hi:[1,0] neg_lo:[0,1] neg_hi:[0,1]
	s_delay_alu instid0(VALU_DEP_3) | instskip(NEXT) | instid1(VALU_DEP_2)
	v_bfi_b32 v5, 0xffff, v5, v6
	v_bfi_b32 v1, 0xffff, v7, v1
	ds_store_b32 v4, v5
	ds_store_b32 v16, v1 offset:1188
	ds_load_b32 v1, v28 offset:648
	ds_load_b32 v4, v16 offset:1080
	s_wait_dscnt 0x0
	v_pk_add_f16 v5, v1, v4 neg_lo:[0,1] neg_hi:[0,1]
	v_pk_add_f16 v1, v1, v4
	s_delay_alu instid0(VALU_DEP_1) | instskip(SKIP_1) | instid1(VALU_DEP_2)
	v_bfi_b32 v4, 0xffff, v5, v1
	v_bfi_b32 v1, 0xffff, v1, v5
	v_pk_mul_f16 v4, v4, 0.5 op_sel_hi:[1,0]
	s_delay_alu instid0(VALU_DEP_2) | instskip(SKIP_1) | instid1(VALU_DEP_2)
	v_pk_mul_f16 v1, v1, 0.5 op_sel_hi:[1,0]
	s_wait_loadcnt 0x1
	v_pk_mul_f16 v6, v18, v4 op_sel_hi:[0,1]
	s_delay_alu instid0(VALU_DEP_2) | instskip(SKIP_2) | instid1(VALU_DEP_3)
	v_pk_fma_f16 v5, v18, v4, v1 op_sel:[1,0,0]
	v_pk_fma_f16 v7, v18, v4, v1 op_sel:[1,0,0] neg_lo:[1,0,0] neg_hi:[1,0,0]
	v_pk_fma_f16 v1, v18, v4, v1 op_sel:[1,0,0] neg_lo:[0,0,1] neg_hi:[0,0,1]
	v_pk_add_f16 v4, v5, v6 op_sel:[0,1] op_sel_hi:[1,0]
	v_pk_add_f16 v5, v5, v6 op_sel:[0,1] op_sel_hi:[1,0] neg_lo:[0,1] neg_hi:[0,1]
	s_delay_alu instid0(VALU_DEP_4) | instskip(NEXT) | instid1(VALU_DEP_4)
	v_pk_add_f16 v7, v7, v6 op_sel:[0,1] op_sel_hi:[1,0] neg_lo:[0,1] neg_hi:[0,1]
	v_pk_add_f16 v1, v1, v6 op_sel:[0,1] op_sel_hi:[1,0] neg_lo:[0,1] neg_hi:[0,1]
	s_delay_alu instid0(VALU_DEP_3) | instskip(NEXT) | instid1(VALU_DEP_2)
	v_bfi_b32 v4, 0xffff, v4, v5
	v_bfi_b32 v1, 0xffff, v7, v1
	ds_store_b32 v28, v4 offset:648
	ds_store_b32 v16, v1 offset:1080
	ds_load_b32 v1, v28 offset:756
	ds_load_b32 v4, v16 offset:972
	s_wait_dscnt 0x0
	v_pk_add_f16 v5, v1, v4 neg_lo:[0,1] neg_hi:[0,1]
	v_pk_add_f16 v1, v1, v4
	s_delay_alu instid0(VALU_DEP_1) | instskip(SKIP_1) | instid1(VALU_DEP_2)
	v_bfi_b32 v4, 0xffff, v5, v1
	v_bfi_b32 v1, 0xffff, v1, v5
	v_pk_mul_f16 v4, v4, 0.5 op_sel_hi:[1,0]
	s_delay_alu instid0(VALU_DEP_2) | instskip(SKIP_1) | instid1(VALU_DEP_2)
	v_pk_mul_f16 v1, v1, 0.5 op_sel_hi:[1,0]
	s_wait_loadcnt 0x0
	v_pk_mul_f16 v6, v13, v4 op_sel_hi:[0,1]
	s_delay_alu instid0(VALU_DEP_2) | instskip(SKIP_2) | instid1(VALU_DEP_3)
	v_pk_fma_f16 v5, v13, v4, v1 op_sel:[1,0,0]
	v_pk_fma_f16 v7, v13, v4, v1 op_sel:[1,0,0] neg_lo:[1,0,0] neg_hi:[1,0,0]
	v_pk_fma_f16 v1, v13, v4, v1 op_sel:[1,0,0] neg_lo:[0,0,1] neg_hi:[0,0,1]
	v_pk_add_f16 v4, v5, v6 op_sel:[0,1] op_sel_hi:[1,0]
	v_pk_add_f16 v5, v5, v6 op_sel:[0,1] op_sel_hi:[1,0] neg_lo:[0,1] neg_hi:[0,1]
	s_delay_alu instid0(VALU_DEP_4) | instskip(NEXT) | instid1(VALU_DEP_4)
	v_pk_add_f16 v7, v7, v6 op_sel:[0,1] op_sel_hi:[1,0] neg_lo:[0,1] neg_hi:[0,1]
	v_pk_add_f16 v1, v1, v6 op_sel:[0,1] op_sel_hi:[1,0] neg_lo:[0,1] neg_hi:[0,1]
	s_delay_alu instid0(VALU_DEP_3) | instskip(NEXT) | instid1(VALU_DEP_2)
	v_bfi_b32 v4, 0xffff, v4, v5
	v_bfi_b32 v1, 0xffff, v7, v1
	ds_store_b32 v28, v4 offset:756
	ds_store_b32 v16, v1 offset:972
	global_wb scope:SCOPE_SE
	s_wait_dscnt 0x0
	s_barrier_signal -1
	s_barrier_wait -1
	global_inv scope:SCOPE_SE
	s_and_saveexec_b32 s0, vcc_lo
	s_cbranch_execz .LBB0_30
; %bb.28:
	v_add_nc_u32_e32 v10, 0x400, v28
	ds_load_2addr_b32 v[4:5], v28 offset1:27
	ds_load_2addr_b32 v[6:7], v28 offset0:54 offset1:81
	ds_load_2addr_b32 v[8:9], v28 offset0:108 offset1:135
	;; [unrolled: 1-line block ×3, first 2 shown]
	v_add_co_u32 v1, vcc_lo, s8, v2
	ds_load_2addr_b32 v[15:16], v28 offset0:216 offset1:243
	ds_load_2addr_b32 v[17:18], v10 offset0:14 offset1:41
	;; [unrolled: 1-line block ×4, first 2 shown]
	s_wait_alu 0xfffd
	v_add_co_ci_u32_e32 v2, vcc_lo, s9, v3, vcc_lo
	v_add_co_u32 v10, vcc_lo, v1, v11
	s_wait_alu 0xfffd
	s_delay_alu instid0(VALU_DEP_2)
	v_add_co_ci_u32_e32 v11, vcc_lo, v2, v12, vcc_lo
	v_cmp_eq_u32_e32 vcc_lo, 26, v0
	s_wait_dscnt 0x7
	s_clause 0x1
	global_store_b32 v[10:11], v4, off
	global_store_b32 v[10:11], v5, off offset:108
	s_wait_dscnt 0x6
	s_clause 0x1
	global_store_b32 v[10:11], v6, off offset:216
	global_store_b32 v[10:11], v7, off offset:324
	s_wait_dscnt 0x5
	s_clause 0x1
	global_store_b32 v[10:11], v8, off offset:432
	;; [unrolled: 4-line block ×7, first 2 shown]
	global_store_b32 v[10:11], v22, off offset:1620
	s_and_b32 exec_lo, exec_lo, vcc_lo
	s_cbranch_execz .LBB0_30
; %bb.29:
	ds_load_b32 v0, v28 offset:1624
	s_wait_dscnt 0x0
	global_store_b32 v[1:2], v0, off offset:1728
.LBB0_30:
	s_nop 0
	s_sendmsg sendmsg(MSG_DEALLOC_VGPRS)
	s_endpgm
	.section	.rodata,"a",@progbits
	.p2align	6, 0x0
	.amdhsa_kernel fft_rtc_back_len432_factors_3_16_3_3_wgs_54_tpt_27_halfLds_half_ip_CI_unitstride_sbrr_R2C_dirReg
		.amdhsa_group_segment_fixed_size 0
		.amdhsa_private_segment_fixed_size 0
		.amdhsa_kernarg_size 88
		.amdhsa_user_sgpr_count 2
		.amdhsa_user_sgpr_dispatch_ptr 0
		.amdhsa_user_sgpr_queue_ptr 0
		.amdhsa_user_sgpr_kernarg_segment_ptr 1
		.amdhsa_user_sgpr_dispatch_id 0
		.amdhsa_user_sgpr_private_segment_size 0
		.amdhsa_wavefront_size32 1
		.amdhsa_uses_dynamic_stack 0
		.amdhsa_enable_private_segment 0
		.amdhsa_system_sgpr_workgroup_id_x 1
		.amdhsa_system_sgpr_workgroup_id_y 0
		.amdhsa_system_sgpr_workgroup_id_z 0
		.amdhsa_system_sgpr_workgroup_info 0
		.amdhsa_system_vgpr_workitem_id 0
		.amdhsa_next_free_vgpr 92
		.amdhsa_next_free_sgpr 32
		.amdhsa_reserve_vcc 1
		.amdhsa_float_round_mode_32 0
		.amdhsa_float_round_mode_16_64 0
		.amdhsa_float_denorm_mode_32 3
		.amdhsa_float_denorm_mode_16_64 3
		.amdhsa_fp16_overflow 0
		.amdhsa_workgroup_processor_mode 1
		.amdhsa_memory_ordered 1
		.amdhsa_forward_progress 0
		.amdhsa_round_robin_scheduling 0
		.amdhsa_exception_fp_ieee_invalid_op 0
		.amdhsa_exception_fp_denorm_src 0
		.amdhsa_exception_fp_ieee_div_zero 0
		.amdhsa_exception_fp_ieee_overflow 0
		.amdhsa_exception_fp_ieee_underflow 0
		.amdhsa_exception_fp_ieee_inexact 0
		.amdhsa_exception_int_div_zero 0
	.end_amdhsa_kernel
	.text
.Lfunc_end0:
	.size	fft_rtc_back_len432_factors_3_16_3_3_wgs_54_tpt_27_halfLds_half_ip_CI_unitstride_sbrr_R2C_dirReg, .Lfunc_end0-fft_rtc_back_len432_factors_3_16_3_3_wgs_54_tpt_27_halfLds_half_ip_CI_unitstride_sbrr_R2C_dirReg
                                        ; -- End function
	.section	.AMDGPU.csdata,"",@progbits
; Kernel info:
; codeLenInByte = 10712
; NumSgprs: 34
; NumVgprs: 92
; ScratchSize: 0
; MemoryBound: 0
; FloatMode: 240
; IeeeMode: 1
; LDSByteSize: 0 bytes/workgroup (compile time only)
; SGPRBlocks: 4
; VGPRBlocks: 11
; NumSGPRsForWavesPerEU: 34
; NumVGPRsForWavesPerEU: 92
; Occupancy: 16
; WaveLimiterHint : 1
; COMPUTE_PGM_RSRC2:SCRATCH_EN: 0
; COMPUTE_PGM_RSRC2:USER_SGPR: 2
; COMPUTE_PGM_RSRC2:TRAP_HANDLER: 0
; COMPUTE_PGM_RSRC2:TGID_X_EN: 1
; COMPUTE_PGM_RSRC2:TGID_Y_EN: 0
; COMPUTE_PGM_RSRC2:TGID_Z_EN: 0
; COMPUTE_PGM_RSRC2:TIDIG_COMP_CNT: 0
	.text
	.p2alignl 7, 3214868480
	.fill 96, 4, 3214868480
	.type	__hip_cuid_92a9b3d15b34f2d4,@object ; @__hip_cuid_92a9b3d15b34f2d4
	.section	.bss,"aw",@nobits
	.globl	__hip_cuid_92a9b3d15b34f2d4
__hip_cuid_92a9b3d15b34f2d4:
	.byte	0                               ; 0x0
	.size	__hip_cuid_92a9b3d15b34f2d4, 1

	.ident	"AMD clang version 19.0.0git (https://github.com/RadeonOpenCompute/llvm-project roc-6.4.0 25133 c7fe45cf4b819c5991fe208aaa96edf142730f1d)"
	.section	".note.GNU-stack","",@progbits
	.addrsig
	.addrsig_sym __hip_cuid_92a9b3d15b34f2d4
	.amdgpu_metadata
---
amdhsa.kernels:
  - .args:
      - .actual_access:  read_only
        .address_space:  global
        .offset:         0
        .size:           8
        .value_kind:     global_buffer
      - .offset:         8
        .size:           8
        .value_kind:     by_value
      - .actual_access:  read_only
        .address_space:  global
        .offset:         16
        .size:           8
        .value_kind:     global_buffer
      - .actual_access:  read_only
        .address_space:  global
        .offset:         24
        .size:           8
        .value_kind:     global_buffer
      - .offset:         32
        .size:           8
        .value_kind:     by_value
      - .actual_access:  read_only
        .address_space:  global
        .offset:         40
        .size:           8
        .value_kind:     global_buffer
      - .actual_access:  read_only
        .address_space:  global
        .offset:         48
        .size:           8
        .value_kind:     global_buffer
      - .offset:         56
        .size:           4
        .value_kind:     by_value
      - .actual_access:  read_only
        .address_space:  global
        .offset:         64
        .size:           8
        .value_kind:     global_buffer
      - .actual_access:  read_only
        .address_space:  global
        .offset:         72
        .size:           8
        .value_kind:     global_buffer
      - .address_space:  global
        .offset:         80
        .size:           8
        .value_kind:     global_buffer
    .group_segment_fixed_size: 0
    .kernarg_segment_align: 8
    .kernarg_segment_size: 88
    .language:       OpenCL C
    .language_version:
      - 2
      - 0
    .max_flat_workgroup_size: 54
    .name:           fft_rtc_back_len432_factors_3_16_3_3_wgs_54_tpt_27_halfLds_half_ip_CI_unitstride_sbrr_R2C_dirReg
    .private_segment_fixed_size: 0
    .sgpr_count:     34
    .sgpr_spill_count: 0
    .symbol:         fft_rtc_back_len432_factors_3_16_3_3_wgs_54_tpt_27_halfLds_half_ip_CI_unitstride_sbrr_R2C_dirReg.kd
    .uniform_work_group_size: 1
    .uses_dynamic_stack: false
    .vgpr_count:     92
    .vgpr_spill_count: 0
    .wavefront_size: 32
    .workgroup_processor_mode: 1
amdhsa.target:   amdgcn-amd-amdhsa--gfx1201
amdhsa.version:
  - 1
  - 2
...

	.end_amdgpu_metadata
